;; amdgpu-corpus repo=ROCm/rocFFT kind=compiled arch=gfx1201 opt=O3
	.text
	.amdgcn_target "amdgcn-amd-amdhsa--gfx1201"
	.amdhsa_code_object_version 6
	.protected	fft_rtc_back_len1573_factors_13_11_11_wgs_143_tpt_143_dp_ip_CI_sbrr_dirReg ; -- Begin function fft_rtc_back_len1573_factors_13_11_11_wgs_143_tpt_143_dp_ip_CI_sbrr_dirReg
	.globl	fft_rtc_back_len1573_factors_13_11_11_wgs_143_tpt_143_dp_ip_CI_sbrr_dirReg
	.p2align	8
	.type	fft_rtc_back_len1573_factors_13_11_11_wgs_143_tpt_143_dp_ip_CI_sbrr_dirReg,@function
fft_rtc_back_len1573_factors_13_11_11_wgs_143_tpt_143_dp_ip_CI_sbrr_dirReg: ; @fft_rtc_back_len1573_factors_13_11_11_wgs_143_tpt_143_dp_ip_CI_sbrr_dirReg
; %bb.0:
	s_clause 0x2
	s_load_b64 s[12:13], s[0:1], 0x18
	s_load_b128 s[4:7], s[0:1], 0x0
	s_load_b64 s[10:11], s[0:1], 0x50
	v_mul_u32_u24_e32 v1, 0x1cb, v0
	v_mov_b32_e32 v3, 0
	s_delay_alu instid0(VALU_DEP_2) | instskip(NEXT) | instid1(VALU_DEP_1)
	v_lshrrev_b32_e32 v1, 16, v1
	v_add_nc_u32_e32 v5, ttmp9, v1
	v_mov_b32_e32 v1, 0
	v_mov_b32_e32 v2, 0
	;; [unrolled: 1-line block ×3, first 2 shown]
	s_wait_kmcnt 0x0
	s_load_b64 s[8:9], s[12:13], 0x0
	v_cmp_lt_u64_e64 s2, s[6:7], 2
	s_delay_alu instid0(VALU_DEP_1)
	s_and_b32 vcc_lo, exec_lo, s2
	s_cbranch_vccnz .LBB0_8
; %bb.1:
	s_load_b64 s[2:3], s[0:1], 0x10
	v_mov_b32_e32 v1, 0
	v_mov_b32_e32 v2, 0
	s_add_nc_u64 s[14:15], s[12:13], 8
	s_mov_b64 s[16:17], 1
	s_wait_kmcnt 0x0
	s_add_nc_u64 s[18:19], s[2:3], 8
	s_mov_b32 s3, 0
.LBB0_2:                                ; =>This Inner Loop Header: Depth=1
	s_load_b64 s[20:21], s[18:19], 0x0
                                        ; implicit-def: $vgpr7_vgpr8
	s_mov_b32 s2, exec_lo
	s_wait_kmcnt 0x0
	v_or_b32_e32 v4, s21, v6
	s_delay_alu instid0(VALU_DEP_1)
	v_cmpx_ne_u64_e32 0, v[3:4]
	s_wait_alu 0xfffe
	s_xor_b32 s22, exec_lo, s2
	s_cbranch_execz .LBB0_4
; %bb.3:                                ;   in Loop: Header=BB0_2 Depth=1
	s_cvt_f32_u32 s2, s20
	s_cvt_f32_u32 s23, s21
	s_sub_nc_u64 s[26:27], 0, s[20:21]
	s_wait_alu 0xfffe
	s_delay_alu instid0(SALU_CYCLE_1) | instskip(SKIP_1) | instid1(SALU_CYCLE_2)
	s_fmamk_f32 s2, s23, 0x4f800000, s2
	s_wait_alu 0xfffe
	v_s_rcp_f32 s2, s2
	s_delay_alu instid0(TRANS32_DEP_1) | instskip(SKIP_1) | instid1(SALU_CYCLE_2)
	s_mul_f32 s2, s2, 0x5f7ffffc
	s_wait_alu 0xfffe
	s_mul_f32 s23, s2, 0x2f800000
	s_wait_alu 0xfffe
	s_delay_alu instid0(SALU_CYCLE_2) | instskip(SKIP_1) | instid1(SALU_CYCLE_2)
	s_trunc_f32 s23, s23
	s_wait_alu 0xfffe
	s_fmamk_f32 s2, s23, 0xcf800000, s2
	s_cvt_u32_f32 s25, s23
	s_wait_alu 0xfffe
	s_delay_alu instid0(SALU_CYCLE_1) | instskip(SKIP_1) | instid1(SALU_CYCLE_2)
	s_cvt_u32_f32 s24, s2
	s_wait_alu 0xfffe
	s_mul_u64 s[28:29], s[26:27], s[24:25]
	s_wait_alu 0xfffe
	s_mul_hi_u32 s31, s24, s29
	s_mul_i32 s30, s24, s29
	s_mul_hi_u32 s2, s24, s28
	s_mul_i32 s33, s25, s28
	s_wait_alu 0xfffe
	s_add_nc_u64 s[30:31], s[2:3], s[30:31]
	s_mul_hi_u32 s23, s25, s28
	s_mul_hi_u32 s34, s25, s29
	s_add_co_u32 s2, s30, s33
	s_wait_alu 0xfffe
	s_add_co_ci_u32 s2, s31, s23
	s_mul_i32 s28, s25, s29
	s_add_co_ci_u32 s29, s34, 0
	s_wait_alu 0xfffe
	s_add_nc_u64 s[28:29], s[2:3], s[28:29]
	s_wait_alu 0xfffe
	v_add_co_u32 v4, s2, s24, s28
	s_delay_alu instid0(VALU_DEP_1) | instskip(SKIP_1) | instid1(VALU_DEP_1)
	s_cmp_lg_u32 s2, 0
	s_add_co_ci_u32 s25, s25, s29
	v_readfirstlane_b32 s24, v4
	s_wait_alu 0xfffe
	s_delay_alu instid0(VALU_DEP_1)
	s_mul_u64 s[26:27], s[26:27], s[24:25]
	s_wait_alu 0xfffe
	s_mul_hi_u32 s29, s24, s27
	s_mul_i32 s28, s24, s27
	s_mul_hi_u32 s2, s24, s26
	s_mul_i32 s30, s25, s26
	s_wait_alu 0xfffe
	s_add_nc_u64 s[28:29], s[2:3], s[28:29]
	s_mul_hi_u32 s23, s25, s26
	s_mul_hi_u32 s24, s25, s27
	s_wait_alu 0xfffe
	s_add_co_u32 s2, s28, s30
	s_add_co_ci_u32 s2, s29, s23
	s_mul_i32 s26, s25, s27
	s_add_co_ci_u32 s27, s24, 0
	s_wait_alu 0xfffe
	s_add_nc_u64 s[26:27], s[2:3], s[26:27]
	s_wait_alu 0xfffe
	v_add_co_u32 v4, s2, v4, s26
	s_delay_alu instid0(VALU_DEP_1) | instskip(SKIP_1) | instid1(VALU_DEP_1)
	s_cmp_lg_u32 s2, 0
	s_add_co_ci_u32 s2, s25, s27
	v_mul_hi_u32 v13, v5, v4
	s_wait_alu 0xfffe
	v_mad_co_u64_u32 v[7:8], null, v5, s2, 0
	v_mad_co_u64_u32 v[9:10], null, v6, v4, 0
	;; [unrolled: 1-line block ×3, first 2 shown]
	s_delay_alu instid0(VALU_DEP_3) | instskip(SKIP_1) | instid1(VALU_DEP_4)
	v_add_co_u32 v4, vcc_lo, v13, v7
	s_wait_alu 0xfffd
	v_add_co_ci_u32_e32 v7, vcc_lo, 0, v8, vcc_lo
	s_delay_alu instid0(VALU_DEP_2) | instskip(SKIP_1) | instid1(VALU_DEP_2)
	v_add_co_u32 v4, vcc_lo, v4, v9
	s_wait_alu 0xfffd
	v_add_co_ci_u32_e32 v4, vcc_lo, v7, v10, vcc_lo
	s_wait_alu 0xfffd
	v_add_co_ci_u32_e32 v7, vcc_lo, 0, v12, vcc_lo
	s_delay_alu instid0(VALU_DEP_2) | instskip(SKIP_1) | instid1(VALU_DEP_2)
	v_add_co_u32 v4, vcc_lo, v4, v11
	s_wait_alu 0xfffd
	v_add_co_ci_u32_e32 v9, vcc_lo, 0, v7, vcc_lo
	s_delay_alu instid0(VALU_DEP_2) | instskip(SKIP_1) | instid1(VALU_DEP_3)
	v_mul_lo_u32 v10, s21, v4
	v_mad_co_u64_u32 v[7:8], null, s20, v4, 0
	v_mul_lo_u32 v11, s20, v9
	s_delay_alu instid0(VALU_DEP_2) | instskip(NEXT) | instid1(VALU_DEP_2)
	v_sub_co_u32 v7, vcc_lo, v5, v7
	v_add3_u32 v8, v8, v11, v10
	s_delay_alu instid0(VALU_DEP_1) | instskip(SKIP_1) | instid1(VALU_DEP_1)
	v_sub_nc_u32_e32 v10, v6, v8
	s_wait_alu 0xfffd
	v_subrev_co_ci_u32_e64 v10, s2, s21, v10, vcc_lo
	v_add_co_u32 v11, s2, v4, 2
	s_wait_alu 0xf1ff
	v_add_co_ci_u32_e64 v12, s2, 0, v9, s2
	v_sub_co_u32 v13, s2, v7, s20
	v_sub_co_ci_u32_e32 v8, vcc_lo, v6, v8, vcc_lo
	s_wait_alu 0xf1ff
	v_subrev_co_ci_u32_e64 v10, s2, 0, v10, s2
	s_delay_alu instid0(VALU_DEP_3) | instskip(NEXT) | instid1(VALU_DEP_3)
	v_cmp_le_u32_e32 vcc_lo, s20, v13
	v_cmp_eq_u32_e64 s2, s21, v8
	s_wait_alu 0xfffd
	v_cndmask_b32_e64 v13, 0, -1, vcc_lo
	v_cmp_le_u32_e32 vcc_lo, s21, v10
	s_wait_alu 0xfffd
	v_cndmask_b32_e64 v14, 0, -1, vcc_lo
	v_cmp_le_u32_e32 vcc_lo, s20, v7
	;; [unrolled: 3-line block ×3, first 2 shown]
	s_wait_alu 0xfffd
	v_cndmask_b32_e64 v15, 0, -1, vcc_lo
	v_cmp_eq_u32_e32 vcc_lo, s21, v10
	s_wait_alu 0xf1ff
	s_delay_alu instid0(VALU_DEP_2)
	v_cndmask_b32_e64 v7, v15, v7, s2
	s_wait_alu 0xfffd
	v_cndmask_b32_e32 v10, v14, v13, vcc_lo
	v_add_co_u32 v13, vcc_lo, v4, 1
	s_wait_alu 0xfffd
	v_add_co_ci_u32_e32 v14, vcc_lo, 0, v9, vcc_lo
	s_delay_alu instid0(VALU_DEP_3) | instskip(SKIP_2) | instid1(VALU_DEP_3)
	v_cmp_ne_u32_e32 vcc_lo, 0, v10
	s_wait_alu 0xfffd
	v_cndmask_b32_e32 v10, v13, v11, vcc_lo
	v_cndmask_b32_e32 v8, v14, v12, vcc_lo
	v_cmp_ne_u32_e32 vcc_lo, 0, v7
	s_wait_alu 0xfffd
	s_delay_alu instid0(VALU_DEP_2)
	v_dual_cndmask_b32 v7, v4, v10 :: v_dual_cndmask_b32 v8, v9, v8
.LBB0_4:                                ;   in Loop: Header=BB0_2 Depth=1
	s_wait_alu 0xfffe
	s_and_not1_saveexec_b32 s2, s22
	s_cbranch_execz .LBB0_6
; %bb.5:                                ;   in Loop: Header=BB0_2 Depth=1
	v_cvt_f32_u32_e32 v4, s20
	s_sub_co_i32 s22, 0, s20
	s_delay_alu instid0(VALU_DEP_1) | instskip(NEXT) | instid1(TRANS32_DEP_1)
	v_rcp_iflag_f32_e32 v4, v4
	v_mul_f32_e32 v4, 0x4f7ffffe, v4
	s_delay_alu instid0(VALU_DEP_1) | instskip(SKIP_1) | instid1(VALU_DEP_1)
	v_cvt_u32_f32_e32 v4, v4
	s_wait_alu 0xfffe
	v_mul_lo_u32 v7, s22, v4
	s_delay_alu instid0(VALU_DEP_1) | instskip(NEXT) | instid1(VALU_DEP_1)
	v_mul_hi_u32 v7, v4, v7
	v_add_nc_u32_e32 v4, v4, v7
	s_delay_alu instid0(VALU_DEP_1) | instskip(NEXT) | instid1(VALU_DEP_1)
	v_mul_hi_u32 v4, v5, v4
	v_mul_lo_u32 v7, v4, s20
	v_add_nc_u32_e32 v8, 1, v4
	s_delay_alu instid0(VALU_DEP_2) | instskip(NEXT) | instid1(VALU_DEP_1)
	v_sub_nc_u32_e32 v7, v5, v7
	v_subrev_nc_u32_e32 v9, s20, v7
	v_cmp_le_u32_e32 vcc_lo, s20, v7
	s_wait_alu 0xfffd
	s_delay_alu instid0(VALU_DEP_2) | instskip(NEXT) | instid1(VALU_DEP_1)
	v_dual_cndmask_b32 v7, v7, v9 :: v_dual_cndmask_b32 v4, v4, v8
	v_cmp_le_u32_e32 vcc_lo, s20, v7
	s_delay_alu instid0(VALU_DEP_2) | instskip(SKIP_1) | instid1(VALU_DEP_1)
	v_add_nc_u32_e32 v8, 1, v4
	s_wait_alu 0xfffd
	v_dual_cndmask_b32 v7, v4, v8 :: v_dual_mov_b32 v8, v3
.LBB0_6:                                ;   in Loop: Header=BB0_2 Depth=1
	s_wait_alu 0xfffe
	s_or_b32 exec_lo, exec_lo, s2
	s_load_b64 s[22:23], s[14:15], 0x0
	s_delay_alu instid0(VALU_DEP_1)
	v_mul_lo_u32 v4, v8, s20
	v_mul_lo_u32 v11, v7, s21
	v_mad_co_u64_u32 v[9:10], null, v7, s20, 0
	s_add_nc_u64 s[16:17], s[16:17], 1
	s_add_nc_u64 s[14:15], s[14:15], 8
	s_wait_alu 0xfffe
	v_cmp_ge_u64_e64 s2, s[16:17], s[6:7]
	s_add_nc_u64 s[18:19], s[18:19], 8
	s_delay_alu instid0(VALU_DEP_2) | instskip(NEXT) | instid1(VALU_DEP_3)
	v_add3_u32 v4, v10, v11, v4
	v_sub_co_u32 v5, vcc_lo, v5, v9
	s_wait_alu 0xfffd
	s_delay_alu instid0(VALU_DEP_2) | instskip(SKIP_3) | instid1(VALU_DEP_2)
	v_sub_co_ci_u32_e32 v4, vcc_lo, v6, v4, vcc_lo
	s_and_b32 vcc_lo, exec_lo, s2
	s_wait_kmcnt 0x0
	v_mul_lo_u32 v6, s23, v5
	v_mul_lo_u32 v4, s22, v4
	v_mad_co_u64_u32 v[1:2], null, s22, v5, v[1:2]
	s_delay_alu instid0(VALU_DEP_1)
	v_add3_u32 v2, v6, v2, v4
	s_wait_alu 0xfffe
	s_cbranch_vccnz .LBB0_9
; %bb.7:                                ;   in Loop: Header=BB0_2 Depth=1
	v_dual_mov_b32 v5, v7 :: v_dual_mov_b32 v6, v8
	s_branch .LBB0_2
.LBB0_8:
	v_dual_mov_b32 v8, v6 :: v_dual_mov_b32 v7, v5
.LBB0_9:
	s_lshl_b64 s[2:3], s[6:7], 3
	v_mul_hi_u32 v3, 0x1ca4b31, v0
	s_wait_alu 0xfffe
	s_add_nc_u64 s[2:3], s[12:13], s[2:3]
	v_mov_b32_e32 v60, 0
	s_load_b64 s[2:3], s[2:3], 0x0
	s_load_b64 s[0:1], s[0:1], 0x20
                                        ; implicit-def: $vgpr14_vgpr15
                                        ; implicit-def: $vgpr18_vgpr19
                                        ; implicit-def: $vgpr22_vgpr23
                                        ; implicit-def: $vgpr26_vgpr27
                                        ; implicit-def: $vgpr30_vgpr31
                                        ; implicit-def: $vgpr42_vgpr43
                                        ; implicit-def: $vgpr50_vgpr51
                                        ; implicit-def: $vgpr38_vgpr39
                                        ; implicit-def: $vgpr34_vgpr35
                                        ; implicit-def: $vgpr46_vgpr47
                                        ; implicit-def: $vgpr10_vgpr11
	s_wait_kmcnt 0x0
	v_mul_lo_u32 v4, s2, v8
	v_mul_lo_u32 v5, s3, v7
	v_mad_co_u64_u32 v[52:53], null, s2, v7, v[1:2]
	v_mul_u32_u24_e32 v1, 0x8f, v3
	v_cmp_gt_u64_e32 vcc_lo, s[0:1], v[7:8]
                                        ; implicit-def: $vgpr2_vgpr3
                                        ; implicit-def: $vgpr6_vgpr7
	s_delay_alu instid0(VALU_DEP_2) | instskip(NEXT) | instid1(VALU_DEP_4)
	v_sub_nc_u32_e32 v61, v0, v1
	v_add3_u32 v53, v5, v53, v4
	s_and_saveexec_b32 s1, vcc_lo
	s_cbranch_execz .LBB0_13
; %bb.10:
	s_mov_b32 s2, exec_lo
                                        ; implicit-def: $vgpr8_vgpr9
                                        ; implicit-def: $vgpr44_vgpr45
                                        ; implicit-def: $vgpr32_vgpr33
                                        ; implicit-def: $vgpr36_vgpr37
                                        ; implicit-def: $vgpr48_vgpr49
                                        ; implicit-def: $vgpr40_vgpr41
                                        ; implicit-def: $vgpr28_vgpr29
                                        ; implicit-def: $vgpr24_vgpr25
                                        ; implicit-def: $vgpr20_vgpr21
                                        ; implicit-def: $vgpr16_vgpr17
                                        ; implicit-def: $vgpr12_vgpr13
                                        ; implicit-def: $vgpr4_vgpr5
                                        ; implicit-def: $vgpr0_vgpr1
	v_cmpx_gt_u32_e32 0x79, v61
	s_cbranch_execz .LBB0_12
; %bb.11:
	v_add_nc_u32_e32 v8, 0x79, v61
	v_mad_co_u64_u32 v[0:1], null, s8, v61, 0
	v_add_nc_u32_e32 v9, 0xf2, v61
	v_lshlrev_b64_e32 v[4:5], 4, v[52:53]
	s_delay_alu instid0(VALU_DEP_4) | instskip(SKIP_1) | instid1(VALU_DEP_4)
	v_mad_co_u64_u32 v[2:3], null, s8, v8, 0
	v_add_nc_u32_e32 v20, 0x34f, v61
	v_mad_co_u64_u32 v[12:13], null, s8, v9, 0
	s_delay_alu instid0(VALU_DEP_4) | instskip(SKIP_3) | instid1(VALU_DEP_4)
	v_add_co_u32 v21, s0, s10, v4
	s_wait_alu 0xf1ff
	v_add_co_ci_u32_e64 v22, s0, s11, v5, s0
	v_mad_co_u64_u32 v[6:7], null, s9, v61, v[1:2]
	v_mov_b32_e32 v4, v13
	v_dual_mov_b32 v1, v3 :: v_dual_add_nc_u32 v10, 0x16b, v61
	v_add_nc_u32_e32 v54, 0x5ac, v61
	s_delay_alu instid0(VALU_DEP_2) | instskip(SKIP_1) | instid1(VALU_DEP_4)
	v_mad_co_u64_u32 v[7:8], null, s9, v8, v[1:2]
	v_mov_b32_e32 v1, v6
	v_mad_co_u64_u32 v[14:15], null, s8, v10, 0
	v_add_nc_u32_e32 v18, 0x1e4, v61
	s_delay_alu instid0(VALU_DEP_3) | instskip(SKIP_1) | instid1(VALU_DEP_3)
	v_lshlrev_b64_e32 v[0:1], 4, v[0:1]
	v_mov_b32_e32 v3, v7
	v_mad_co_u64_u32 v[16:17], null, s8, v18, 0
	v_mov_b32_e32 v5, v15
	s_delay_alu instid0(VALU_DEP_3) | instskip(SKIP_4) | instid1(VALU_DEP_4)
	v_lshlrev_b64_e32 v[2:3], 4, v[2:3]
	v_add_co_u32 v0, s0, v21, v0
	s_wait_alu 0xf1ff
	v_add_co_ci_u32_e64 v1, s0, v22, v1, s0
	v_mad_co_u64_u32 v[6:7], null, s9, v9, v[4:5]
	v_add_co_u32 v2, s0, v21, v2
	v_add_nc_u32_e32 v7, 0x25d, v61
	s_wait_alu 0xf1ff
	v_add_co_ci_u32_e64 v3, s0, v22, v3, s0
	s_delay_alu instid0(VALU_DEP_4)
	v_mad_co_u64_u32 v[4:5], null, s9, v10, v[5:6]
	s_clause 0x1
	global_load_b128 v[8:11], v[0:1], off
	global_load_b128 v[44:47], v[2:3], off
	v_dual_mov_b32 v2, v17 :: v_dual_mov_b32 v15, v4
	v_mad_co_u64_u32 v[3:4], null, s8, v7, 0
	v_mov_b32_e32 v13, v6
	s_delay_alu instid0(VALU_DEP_3) | instskip(NEXT) | instid1(VALU_DEP_2)
	v_lshlrev_b64_e32 v[5:6], 4, v[14:15]
	v_lshlrev_b64_e32 v[0:1], 4, v[12:13]
	s_delay_alu instid0(VALU_DEP_4) | instskip(SKIP_2) | instid1(VALU_DEP_4)
	v_mad_co_u64_u32 v[12:13], null, s9, v18, v[2:3]
	v_mov_b32_e32 v2, v4
	v_mad_co_u64_u32 v[18:19], null, s8, v20, 0
	v_add_co_u32 v0, s0, v21, v0
	s_wait_alu 0xf1ff
	v_add_co_ci_u32_e64 v1, s0, v22, v1, s0
	v_add_co_u32 v4, s0, v21, v5
	s_wait_alu 0xf1ff
	v_add_co_ci_u32_e64 v5, s0, v22, v6, s0
	v_mad_co_u64_u32 v[6:7], null, s9, v7, v[2:3]
	v_add_nc_u32_e32 v15, 0x2d6, v61
	s_clause 0x1
	global_load_b128 v[32:35], v[0:1], off
	global_load_b128 v[36:39], v[4:5], off
	v_dual_mov_b32 v17, v12 :: v_dual_mov_b32 v4, v6
	v_mad_co_u64_u32 v[13:14], null, s8, v15, 0
	s_delay_alu instid0(VALU_DEP_1) | instskip(NEXT) | instid1(VALU_DEP_1)
	v_mov_b32_e32 v2, v14
	v_mad_co_u64_u32 v[14:15], null, s9, v15, v[2:3]
	v_mov_b32_e32 v2, v19
	v_lshlrev_b64_e32 v[3:4], 4, v[3:4]
	v_lshlrev_b64_e32 v[0:1], 4, v[16:17]
	v_add_nc_u32_e32 v15, 0x3c8, v61
	s_delay_alu instid0(VALU_DEP_3) | instskip(NEXT) | instid1(VALU_DEP_3)
	v_mad_co_u64_u32 v[5:6], null, s9, v20, v[2:3]
	v_add_co_u32 v0, s0, v21, v0
	s_wait_alu 0xf1ff
	s_delay_alu instid0(VALU_DEP_4)
	v_add_co_ci_u32_e64 v1, s0, v22, v1, s0
	v_lshlrev_b64_e32 v[6:7], 4, v[13:14]
	v_mad_co_u64_u32 v[12:13], null, s8, v15, 0
	v_add_co_u32 v2, s0, v21, v3
	v_mov_b32_e32 v19, v5
	s_wait_alu 0xf1ff
	v_add_co_ci_u32_e64 v3, s0, v22, v4, s0
	s_clause 0x1
	global_load_b128 v[48:51], v[0:1], off
	global_load_b128 v[40:43], v[2:3], off
	v_lshlrev_b64_e32 v[3:4], 4, v[18:19]
	v_add_nc_u32_e32 v18, 0x441, v61
	v_mov_b32_e32 v2, v13
	v_add_co_u32 v0, s0, v21, v6
	s_wait_alu 0xf1ff
	v_add_co_ci_u32_e64 v1, s0, v22, v7, s0
	s_delay_alu instid0(VALU_DEP_3)
	v_mad_co_u64_u32 v[5:6], null, s9, v15, v[2:3]
	v_add_nc_u32_e32 v20, 0x4ba, v61
	v_mad_co_u64_u32 v[6:7], null, s8, v18, 0
	v_add_nc_u32_e32 v23, 0x533, v61
	v_add_co_u32 v2, s0, v21, v3
	v_mov_b32_e32 v13, v5
	v_mad_co_u64_u32 v[14:15], null, s8, v20, 0
	s_wait_alu 0xf1ff
	v_add_co_ci_u32_e64 v3, s0, v22, v4, s0
	v_mov_b32_e32 v4, v7
	v_mad_co_u64_u32 v[16:17], null, s8, v23, 0
	s_clause 0x1
	global_load_b128 v[28:31], v[0:1], off
	global_load_b128 v[24:27], v[2:3], off
	v_mov_b32_e32 v5, v15
	v_lshlrev_b64_e32 v[1:2], 4, v[12:13]
	s_delay_alu instid0(VALU_DEP_2) | instskip(SKIP_2) | instid1(VALU_DEP_3)
	v_mad_co_u64_u32 v[18:19], null, s9, v18, v[4:5]
	v_mad_co_u64_u32 v[4:5], null, s9, v20, v[5:6]
	;; [unrolled: 1-line block ×3, first 2 shown]
	v_dual_mov_b32 v0, v17 :: v_dual_mov_b32 v7, v18
	s_delay_alu instid0(VALU_DEP_3) | instskip(NEXT) | instid1(VALU_DEP_2)
	v_mov_b32_e32 v15, v4
	v_mad_co_u64_u32 v[3:4], null, s9, v23, v[0:1]
	s_delay_alu instid0(VALU_DEP_4)
	v_mov_b32_e32 v0, v20
	v_add_co_u32 v1, s0, v21, v1
	v_lshlrev_b64_e32 v[4:5], 4, v[6:7]
	v_lshlrev_b64_e32 v[12:13], 4, v[14:15]
	s_wait_alu 0xf1ff
	v_add_co_ci_u32_e64 v2, s0, v22, v2, s0
	v_mad_co_u64_u32 v[6:7], null, s9, v54, v[0:1]
	v_mov_b32_e32 v17, v3
	v_add_co_u32 v3, s0, v21, v4
	s_wait_alu 0xf1ff
	v_add_co_ci_u32_e64 v4, s0, v22, v5, s0
	v_add_co_u32 v5, s0, v21, v12
	v_mov_b32_e32 v20, v6
	v_lshlrev_b64_e32 v[14:15], 4, v[16:17]
	s_wait_alu 0xf1ff
	v_add_co_ci_u32_e64 v6, s0, v22, v13, s0
	s_delay_alu instid0(VALU_DEP_3) | instskip(NEXT) | instid1(VALU_DEP_3)
	v_lshlrev_b64_e32 v[12:13], 4, v[19:20]
	v_add_co_u32 v54, s0, v21, v14
	s_wait_alu 0xf1ff
	v_add_co_ci_u32_e64 v55, s0, v22, v15, s0
	s_delay_alu instid0(VALU_DEP_3)
	v_add_co_u32 v56, s0, v21, v12
	s_wait_alu 0xf1ff
	v_add_co_ci_u32_e64 v57, s0, v22, v13, s0
	s_clause 0x4
	global_load_b128 v[20:23], v[1:2], off
	global_load_b128 v[16:19], v[3:4], off
	;; [unrolled: 1-line block ×5, first 2 shown]
.LBB0_12:
	s_wait_alu 0xfffe
	s_or_b32 exec_lo, exec_lo, s2
	v_mov_b32_e32 v60, v61
.LBB0_13:
	s_wait_alu 0xfffe
	s_or_b32 exec_lo, exec_lo, s1
	s_delay_alu instid0(SALU_CYCLE_1)
	s_mov_b32 s33, exec_lo
	v_cmpx_gt_u32_e32 0x79, v61
	s_cbranch_execz .LBB0_15
; %bb.14:
	s_wait_loadcnt 0xb
	v_add_f64_e32 v[54:55], v[46:47], v[10:11]
	v_add_f64_e32 v[56:57], v[44:45], v[8:9]
	s_wait_loadcnt 0x0
	v_add_f64_e64 v[62:63], v[44:45], -v[0:1]
	v_add_f64_e32 v[68:69], v[0:1], v[44:45]
	s_mov_b32 s28, 0x66966769
	s_mov_b32 s20, 0x2ef20147
	;; [unrolled: 1-line block ×19, first 2 shown]
	s_wait_alu 0xfffe
	s_mov_b32 s34, s28
	s_mov_b32 s16, s2
	;; [unrolled: 1-line block ×3, first 2 shown]
	v_add_f64_e32 v[70:71], v[2:3], v[46:47]
	v_add_f64_e64 v[46:47], v[46:47], -v[2:3]
	v_add_f64_e64 v[72:73], v[32:33], -v[4:5]
	v_add_f64_e32 v[74:75], v[4:5], v[32:33]
	v_add_f64_e64 v[76:77], v[36:37], -v[12:13]
	v_add_f64_e32 v[78:79], v[12:13], v[36:37]
	;; [unrolled: 2-line block ×3, first 2 shown]
	s_mov_b32 s36, 0xebaa3ed8
	s_mov_b32 s30, 0xb2365da1
	;; [unrolled: 1-line block ×4, first 2 shown]
	v_add_f64_e32 v[54:55], v[34:35], v[54:55]
	v_add_f64_e32 v[56:57], v[32:33], v[56:57]
	v_add_f64_e64 v[32:33], v[42:43], -v[22:23]
	v_mul_f64_e32 v[92:93], s[0:1], v[62:63]
	v_mul_f64_e32 v[94:95], s[6:7], v[62:63]
	;; [unrolled: 1-line block ×4, first 2 shown]
	s_wait_alu 0xfffe
	v_mul_f64_e32 v[100:101], s[16:17], v[62:63]
	v_mul_f64_e32 v[62:63], s[14:15], v[62:63]
	;; [unrolled: 1-line block ×4, first 2 shown]
	s_mov_b32 s37, 0x3fbedb7d
	s_mov_b32 s31, 0xbfd6b1d8
	;; [unrolled: 1-line block ×10, first 2 shown]
	v_add_f64_e32 v[44:45], v[26:27], v[30:31]
	v_add_f64_e32 v[58:59], v[24:25], v[28:29]
	;; [unrolled: 1-line block ×4, first 2 shown]
	v_add_f64_e64 v[34:35], v[34:35], -v[6:7]
	v_mul_f64_e32 v[106:107], s[30:31], v[68:69]
	v_mul_f64_e32 v[108:109], s[36:37], v[68:69]
	s_wait_alu 0xfffe
	v_mul_f64_e32 v[110:111], s[26:27], v[68:69]
	v_mul_f64_e32 v[68:69], s[22:23], v[68:69]
	;; [unrolled: 1-line block ×10, first 2 shown]
	v_add_f64_e32 v[64:65], v[38:39], v[54:55]
	v_add_f64_e32 v[66:67], v[36:37], v[56:57]
	;; [unrolled: 1-line block ×3, first 2 shown]
	v_add_f64_e64 v[56:57], v[28:29], -v[24:25]
	v_add_f64_e64 v[54:55], v[30:31], -v[26:27]
	v_mul_f64_e32 v[130:131], s[42:43], v[72:73]
	v_fma_f64 v[148:149], v[70:71], s[18:19], v[92:93]
	v_fma_f64 v[92:93], v[70:71], s[18:19], -v[92:93]
	v_fma_f64 v[150:151], v[70:71], s[24:25], v[94:95]
	v_fma_f64 v[94:95], v[70:71], s[24:25], -v[94:95]
	;; [unrolled: 2-line block ×6, first 2 shown]
	v_fma_f64 v[70:71], v[46:47], s[40:41], v[102:103]
	v_fma_f64 v[102:103], v[46:47], s[0:1], v[102:103]
	;; [unrolled: 1-line block ×4, first 2 shown]
	v_add_f64_e64 v[84:85], v[48:49], -v[16:17]
	v_add_f64_e64 v[38:39], v[38:39], -v[14:15]
	v_mul_f64_e32 v[118:119], s[24:25], v[78:79]
	v_mul_f64_e32 v[122:123], s[26:27], v[78:79]
	;; [unrolled: 1-line block ×11, first 2 shown]
	v_fma_f64 v[162:163], v[46:47], s[2:3], v[110:111]
	v_fma_f64 v[110:111], v[46:47], s[16:17], v[110:111]
	;; [unrolled: 1-line block ×3, first 2 shown]
	v_add_f64_e32 v[64:65], v[50:51], v[64:65]
	v_add_f64_e32 v[66:67], v[48:49], v[66:67]
	;; [unrolled: 1-line block ×3, first 2 shown]
	v_fma_f64 v[166:167], v[34:35], s[14:15], v[114:115]
	v_fma_f64 v[168:169], v[88:89], s[24:25], v[116:117]
	;; [unrolled: 1-line block ×3, first 2 shown]
	v_fma_f64 v[116:117], v[88:89], s[24:25], -v[116:117]
	v_fma_f64 v[176:177], v[88:89], s[26:27], v[120:121]
	v_fma_f64 v[120:121], v[88:89], s[26:27], -v[120:121]
	v_fma_f64 v[178:179], v[88:89], s[22:23], v[124:125]
	;; [unrolled: 2-line block ×6, first 2 shown]
	v_add_f64_e32 v[148:149], v[10:11], v[148:149]
	v_add_f64_e32 v[70:71], v[8:9], v[70:71]
	;; [unrolled: 1-line block ×9, first 2 shown]
	v_add_f64_e64 v[50:51], v[50:51], -v[18:19]
	v_fma_f64 v[170:171], v[38:39], s[42:43], v[118:119]
	v_fma_f64 v[118:119], v[38:39], s[6:7], v[118:119]
	v_fma_f64 v[130:131], v[90:91], s[24:25], -v[130:131]
	v_fma_f64 v[186:187], v[90:91], s[18:19], v[132:133]
	v_fma_f64 v[132:133], v[90:91], s[18:19], -v[132:133]
	;; [unrolled: 2-line block ×3, first 2 shown]
	v_add_f64_e32 v[94:95], v[10:11], v[94:95]
	v_add_f64_e32 v[96:97], v[10:11], v[96:97]
	v_add_f64_e32 v[154:155], v[10:11], v[154:155]
	v_add_f64_e32 v[42:43], v[42:43], v[64:65]
	v_add_f64_e32 v[40:41], v[40:41], v[66:67]
	v_mul_f64_e32 v[66:67], s[36:37], v[74:75]
	v_mul_f64_e32 v[64:65], s[28:29], v[72:73]
	v_mul_f64_e32 v[72:73], s[16:17], v[72:73]
	v_mul_f64_e32 v[74:75], s[26:27], v[74:75]
	v_add_f64_e32 v[98:99], v[10:11], v[98:99]
	v_add_f64_e32 v[156:157], v[10:11], v[156:157]
	;; [unrolled: 1-line block ×8, first 2 shown]
	v_fma_f64 v[62:63], v[34:35], s[20:21], v[140:141]
	v_fma_f64 v[190:191], v[38:39], s[40:41], v[146:147]
	;; [unrolled: 1-line block ×4, first 2 shown]
	v_add_f64_e32 v[70:71], v[166:167], v[70:71]
	v_mul_f64_e32 v[166:167], s[28:29], v[56:57]
	v_add_f64_e32 v[102:103], v[114:115], v[102:103]
	v_mul_f64_e32 v[114:115], s[20:21], v[80:81]
	;; [unrolled: 2-line block ×4, first 2 shown]
	v_add_f64_e32 v[30:31], v[30:31], v[42:43]
	v_add_f64_e32 v[28:29], v[28:29], v[40:41]
	v_fma_f64 v[40:41], v[46:47], s[38:39], v[106:107]
	v_fma_f64 v[42:43], v[46:47], s[20:21], v[106:107]
	;; [unrolled: 1-line block ×6, first 2 shown]
	v_fma_f64 v[112:113], v[90:91], s[22:23], -v[112:113]
	v_fma_f64 v[174:175], v[34:35], s[34:35], v[66:67]
	v_fma_f64 v[172:173], v[90:91], s[36:37], v[64:65]
	v_fma_f64 v[66:67], v[34:35], s[28:29], v[66:67]
	v_fma_f64 v[64:65], v[90:91], s[36:37], -v[64:65]
	v_add_f64_e32 v[154:155], v[186:187], v[154:155]
	v_add_f64_e32 v[98:99], v[132:133], v[98:99]
	v_mul_f64_e32 v[132:133], s[12:13], v[84:85]
	v_add_f64_e32 v[156:157], v[188:189], v[156:157]
	v_add_f64_e32 v[100:101], v[134:135], v[100:101]
	v_mul_f64_e32 v[134:135], s[24:25], v[48:49]
	v_add_f64_e32 v[62:63], v[62:63], v[110:111]
	v_add_f64_e32 v[70:71], v[170:171], v[70:71]
	;; [unrolled: 1-line block ×3, first 2 shown]
	v_mul_f64_e32 v[110:111], s[40:41], v[80:81]
	v_add_f64_e32 v[88:89], v[178:179], v[88:89]
	v_add_f64_e32 v[96:97], v[124:125], v[96:97]
	;; [unrolled: 1-line block ×4, first 2 shown]
	v_fma_f64 v[28:29], v[90:91], s[26:27], v[72:73]
	v_fma_f64 v[30:31], v[90:91], s[26:27], -v[72:73]
	v_fma_f64 v[72:73], v[34:35], s[6:7], v[136:137]
	v_fma_f64 v[90:91], v[34:35], s[42:43], v[136:137]
	;; [unrolled: 1-line block ×4, first 2 shown]
	v_add_f64_e32 v[40:41], v[8:9], v[40:41]
	v_add_f64_e32 v[42:43], v[8:9], v[42:43]
	;; [unrolled: 1-line block ×5, first 2 shown]
	v_fma_f64 v[46:47], v[34:35], s[38:39], v[140:141]
	v_fma_f64 v[140:141], v[34:35], s[2:3], v[74:75]
	v_fma_f64 v[34:35], v[34:35], s[16:17], v[74:75]
	v_fma_f64 v[74:75], v[38:39], s[2:3], v[122:123]
	v_fma_f64 v[122:123], v[38:39], s[16:17], v[122:123]
	v_add_f64_e32 v[68:69], v[68:69], v[148:149]
	v_add_f64_e32 v[92:93], v[112:113], v[92:93]
	v_mul_f64_e32 v[112:113], s[26:27], v[48:49]
	v_add_f64_e32 v[160:161], v[174:175], v[160:161]
	v_add_f64_e32 v[148:149], v[172:173], v[150:151]
	;; [unrolled: 1-line block ×3, first 2 shown]
	v_mul_f64_e32 v[104:105], s[40:41], v[84:85]
	v_mul_f64_e32 v[150:151], s[30:31], v[82:83]
	v_add_f64_e32 v[64:65], v[64:65], v[94:95]
	v_mul_f64_e32 v[174:175], s[36:37], v[48:49]
	v_add_f64_e32 v[154:155], v[180:181], v[154:155]
	v_add_f64_e32 v[100:101], v[128:129], v[100:101]
	v_mul_f64_e32 v[128:129], s[12:13], v[56:57]
	v_mul_f64_e32 v[172:173], s[30:31], v[58:59]
	;; [unrolled: 1-line block ×3, first 2 shown]
	v_add_f64_e32 v[22:23], v[22:23], v[26:27]
	v_add_f64_e32 v[20:21], v[20:21], v[24:25]
	v_fma_f64 v[24:25], v[38:39], s[14:15], v[142:143]
	v_fma_f64 v[26:27], v[38:39], s[12:13], v[142:143]
	;; [unrolled: 1-line block ×5, first 2 shown]
	v_mul_f64_e32 v[78:79], s[2:3], v[84:85]
	v_add_f64_e32 v[40:41], v[72:73], v[40:41]
	v_add_f64_e32 v[42:43], v[90:91], v[42:43]
	;; [unrolled: 1-line block ×3, first 2 shown]
	v_mul_f64_e32 v[136:137], s[34:35], v[84:85]
	v_add_f64_e32 v[108:109], v[138:139], v[108:109]
	v_mul_f64_e32 v[138:139], s[42:43], v[84:85]
	v_mul_f64_e32 v[84:85], s[20:21], v[84:85]
	v_add_f64_e32 v[46:47], v[46:47], v[162:163]
	v_mul_f64_e32 v[162:163], s[22:23], v[48:49]
	v_mul_f64_e32 v[48:49], s[30:31], v[48:49]
	v_add_f64_e32 v[68:69], v[168:169], v[68:69]
	v_add_f64_e32 v[92:93], v[116:117], v[92:93]
	v_fma_f64 v[118:119], v[50:51], s[16:17], v[112:113]
	v_add_f64_e32 v[74:75], v[74:75], v[160:161]
	v_fma_f64 v[160:161], v[50:51], s[0:1], v[152:153]
	v_mul_f64_e32 v[72:73], s[12:13], v[80:81]
	v_fma_f64 v[112:113], v[50:51], s[2:3], v[112:113]
	v_add_f64_e32 v[148:149], v[176:177], v[148:149]
	v_fma_f64 v[176:177], v[86:87], s[18:19], v[104:105]
	v_add_f64_e32 v[10:11], v[30:31], v[10:11]
	v_add_f64_e32 v[8:9], v[34:35], v[8:9]
	;; [unrolled: 1-line block ×4, first 2 shown]
	v_mul_f64_e32 v[158:159], s[18:19], v[82:83]
	v_mul_f64_e32 v[116:117], s[26:27], v[82:83]
	v_mul_f64_e32 v[164:165], s[28:29], v[80:81]
	v_mul_f64_e32 v[30:31], s[36:37], v[82:83]
	v_fma_f64 v[34:35], v[36:37], s[30:31], v[114:115]
	v_add_f64_e32 v[64:65], v[120:121], v[64:65]
	v_fma_f64 v[120:121], v[32:33], s[38:39], v[150:151]
	v_add_f64_e32 v[66:67], v[122:123], v[66:67]
	v_fma_f64 v[114:115], v[36:37], s[30:31], -v[114:115]
	v_fma_f64 v[104:105], v[86:87], s[18:19], -v[104:105]
	v_fma_f64 v[152:153], v[50:51], s[40:41], v[152:153]
	v_fma_f64 v[180:181], v[50:51], s[28:29], v[174:175]
	;; [unrolled: 1-line block ×3, first 2 shown]
	v_add_f64_e32 v[18:19], v[18:19], v[22:23]
	v_fma_f64 v[170:171], v[86:87], s[26:27], v[78:79]
	v_fma_f64 v[78:79], v[86:87], s[26:27], -v[78:79]
	v_add_f64_e32 v[24:25], v[24:25], v[40:41]
	v_fma_f64 v[40:41], v[32:33], s[14:15], v[130:131]
	v_fma_f64 v[124:125], v[86:87], s[36:37], v[136:137]
	v_fma_f64 v[136:137], v[86:87], s[36:37], -v[136:137]
	v_add_f64_e32 v[26:27], v[26:27], v[42:43]
	v_fma_f64 v[42:43], v[86:87], s[22:23], v[132:133]
	v_fma_f64 v[132:133], v[86:87], s[22:23], -v[132:133]
	v_add_f64_e32 v[16:17], v[16:17], v[20:21]
	v_add_f64_e32 v[20:21], v[142:143], v[106:107]
	;; [unrolled: 1-line block ×5, first 2 shown]
	v_fma_f64 v[118:119], v[50:51], s[14:15], v[162:163]
	v_fma_f64 v[162:163], v[50:51], s[12:13], v[162:163]
	v_add_f64_e32 v[74:75], v[160:161], v[74:75]
	v_add_f64_e32 v[106:107], v[182:183], v[156:157]
	v_fma_f64 v[126:127], v[32:33], s[12:13], v[130:131]
	v_fma_f64 v[130:131], v[86:87], s[24:25], -v[138:139]
	v_add_f64_e32 v[46:47], v[190:191], v[46:47]
	v_fma_f64 v[142:143], v[50:51], s[38:39], v[48:49]
	v_fma_f64 v[48:49], v[50:51], s[20:21], v[48:49]
	v_mul_f64_e32 v[168:169], s[16:17], v[80:81]
	v_fma_f64 v[150:151], v[32:33], s[20:21], v[150:151]
	v_fma_f64 v[178:179], v[36:37], s[22:23], v[72:73]
	v_mul_f64_e32 v[80:81], s[6:7], v[80:81]
	v_mul_f64_e32 v[82:83], s[24:25], v[82:83]
	v_add_f64_e32 v[10:11], v[76:77], v[10:11]
	v_add_f64_e32 v[8:9], v[38:39], v[8:9]
	;; [unrolled: 1-line block ×3, first 2 shown]
	v_mul_f64_e32 v[90:91], s[20:21], v[56:57]
	v_fma_f64 v[72:73], v[36:37], s[22:23], -v[72:73]
	v_add_f64_e32 v[38:39], v[104:105], v[64:65]
	v_add_f64_e32 v[64:65], v[152:153], v[66:67]
	v_fma_f64 v[104:105], v[32:33], s[2:3], v[116:117]
	v_fma_f64 v[122:123], v[44:45], s[36:37], v[166:167]
	v_add_f64_e32 v[14:15], v[14:15], v[18:19]
	v_add_f64_e32 v[68:69], v[170:171], v[68:69]
	v_fma_f64 v[170:171], v[86:87], s[24:25], v[138:139]
	v_add_f64_e32 v[78:79], v[78:79], v[92:93]
	v_fma_f64 v[138:139], v[86:87], s[30:31], v[84:85]
	v_fma_f64 v[84:85], v[86:87], s[30:31], -v[84:85]
	v_fma_f64 v[86:87], v[50:51], s[6:7], v[134:135]
	v_fma_f64 v[134:135], v[50:51], s[42:43], v[134:135]
	v_add_f64_e32 v[50:51], v[146:147], v[62:63]
	v_add_f64_e32 v[92:93], v[112:113], v[102:103]
	;; [unrolled: 1-line block ×12, first 2 shown]
	v_fma_f64 v[74:75], v[36:37], s[18:19], v[110:111]
	v_fma_f64 v[96:97], v[36:37], s[18:19], -v[110:111]
	v_fma_f64 v[98:99], v[32:33], s[40:41], v[158:159]
	v_fma_f64 v[110:111], v[32:33], s[16:17], v[116:117]
	v_add_f64_e32 v[100:101], v[130:131], v[100:101]
	v_fma_f64 v[118:119], v[36:37], s[36:37], -v[164:165]
	v_mul_f64_e32 v[132:133], s[22:23], v[58:59]
	v_add_f64_e32 v[24:25], v[180:181], v[24:25]
	v_add_f64_e32 v[42:43], v[42:43], v[154:155]
	v_mul_f64_e32 v[116:117], s[2:3], v[56:57]
	v_mul_f64_e32 v[124:125], s[26:27], v[58:59]
	v_fma_f64 v[136:137], v[36:37], s[24:25], v[80:81]
	v_add_f64_e32 v[8:9], v[48:49], v[8:9]
	v_fma_f64 v[130:131], v[44:45], s[30:31], v[90:91]
	v_add_f64_e32 v[38:39], v[72:73], v[38:39]
	v_add_f64_e32 v[48:49], v[126:127], v[64:65]
	v_fma_f64 v[64:65], v[44:45], s[30:31], -v[90:91]
	v_fma_f64 v[72:73], v[54:55], s[20:21], v[172:173]
	v_fma_f64 v[108:109], v[54:55], s[34:35], v[94:95]
	v_add_f64_e32 v[34:35], v[34:35], v[68:69]
	v_add_f64_e32 v[68:69], v[120:121], v[70:71]
	v_add_f64_e32 v[70:71], v[114:115], v[78:79]
	v_add_f64_e32 v[22:23], v[170:171], v[106:107]
	v_fma_f64 v[114:115], v[36:37], s[36:37], v[164:165]
	v_add_f64_e32 v[46:47], v[86:87], v[46:47]
	v_fma_f64 v[86:87], v[32:33], s[34:35], v[30:31]
	v_add_f64_e32 v[50:51], v[134:135], v[50:51]
	;; [unrolled: 2-line block ×3, first 2 shown]
	v_add_f64_e32 v[88:89], v[178:179], v[102:103]
	v_fma_f64 v[92:93], v[32:33], s[0:1], v[158:159]
	v_fma_f64 v[102:103], v[36:37], s[26:27], v[168:169]
	v_fma_f64 v[106:107], v[36:37], s[26:27], -v[168:169]
	v_mul_f64_e32 v[120:121], s[6:7], v[56:57]
	v_mul_f64_e32 v[134:135], s[24:25], v[58:59]
	;; [unrolled: 1-line block ×3, first 2 shown]
	v_fma_f64 v[36:37], v[36:37], s[24:25], -v[80:81]
	v_add_f64_e32 v[10:11], v[84:85], v[10:11]
	v_mul_f64_e32 v[58:59], s[18:19], v[58:59]
	v_fma_f64 v[80:81], v[32:33], s[6:7], v[82:83]
	v_add_f64_e32 v[28:29], v[138:139], v[28:29]
	v_add_f64_e32 v[62:63], v[142:143], v[62:63]
	v_fma_f64 v[32:33], v[32:33], s[42:43], v[82:83]
	v_add_f64_e32 v[66:67], v[74:75], v[66:67]
	v_add_f64_e32 v[74:75], v[96:97], v[76:77]
	;; [unrolled: 1-line block ×4, first 2 shown]
	v_fma_f64 v[110:111], v[44:45], s[22:23], -v[128:129]
	v_fma_f64 v[20:21], v[44:45], s[26:27], v[116:117]
	v_fma_f64 v[26:27], v[44:45], s[26:27], -v[116:117]
	v_add_f64_e32 v[90:91], v[104:105], v[16:17]
	v_fma_f64 v[104:105], v[54:55], s[16:17], v[124:125]
	v_fma_f64 v[112:113], v[44:45], s[36:37], -v[166:167]
	v_fma_f64 v[94:95], v[54:55], s[28:29], v[94:95]
	v_fma_f64 v[138:139], v[54:55], s[38:39], v[172:173]
	v_add_f64_e32 v[82:83], v[6:7], v[14:15]
	v_add_f64_e32 v[84:85], v[4:5], v[12:13]
	;; [unrolled: 1-line block ×6, first 2 shown]
	v_fma_f64 v[114:115], v[54:55], s[12:13], v[132:133]
	v_add_f64_e32 v[46:47], v[86:87], v[46:47]
	v_add_f64_e32 v[86:87], v[118:119], v[100:101]
	;; [unrolled: 1-line block ×3, first 2 shown]
	v_fma_f64 v[118:119], v[54:55], s[2:3], v[124:125]
	v_add_f64_e32 v[14:15], v[130:131], v[88:89]
	v_add_f64_e32 v[24:25], v[92:93], v[24:25]
	;; [unrolled: 1-line block ×4, first 2 shown]
	v_fma_f64 v[102:103], v[44:45], s[24:25], -v[120:121]
	v_fma_f64 v[116:117], v[54:55], s[6:7], v[134:135]
	v_fma_f64 v[100:101], v[44:45], s[24:25], v[120:121]
	v_fma_f64 v[124:125], v[54:55], s[42:43], v[134:135]
	v_fma_f64 v[106:107], v[44:45], s[22:23], v[128:129]
	v_fma_f64 v[128:129], v[54:55], s[14:15], v[132:133]
	v_fma_f64 v[126:127], v[44:45], s[18:19], v[56:57]
	v_fma_f64 v[44:45], v[44:45], s[18:19], -v[56:57]
	v_add_f64_e32 v[56:57], v[36:37], v[10:11]
	v_fma_f64 v[132:133], v[54:55], s[40:41], v[58:59]
	v_fma_f64 v[54:55], v[54:55], s[0:1], v[58:59]
	v_add_f64_e32 v[58:59], v[80:81], v[8:9]
	v_add_f64_e32 v[120:121], v[136:137], v[28:29]
	;; [unrolled: 1-line block ×25, first 2 shown]
	v_mad_u32_u24 v54, 0xd0, v61, 0
	ds_store_b128 v54, v[32:35] offset:32
	ds_store_b128 v54, v[28:31] offset:48
	;; [unrolled: 1-line block ×10, first 2 shown]
	ds_store_b128 v54, v[0:3]
	ds_store_b128 v54, v[48:51] offset:16
	ds_store_b128 v54, v[44:47] offset:192
.LBB0_15:
	s_or_b32 exec_lo, exec_lo, s33
	s_wait_loadcnt 0x0
	v_and_b32_e32 v0, 0xff, v61
	global_wb scope:SCOPE_SE
	s_wait_dscnt 0x0
	s_barrier_signal -1
	s_barrier_wait -1
	global_inv scope:SCOPE_SE
	v_mul_lo_u16 v0, 0x4f, v0
	v_lshl_add_u32 v48, v61, 4, 0
	s_mov_b32 s14, 0xf8bb580b
	s_mov_b32 s0, 0x8764f0ba
	;; [unrolled: 1-line block ×3, first 2 shown]
	v_lshrrev_b16 v36, 10, v0
	s_mov_b32 s2, 0xd9c712b6
	s_mov_b32 s15, 0xbfe14ced
	;; [unrolled: 1-line block ×4, first 2 shown]
	v_mul_lo_u16 v0, v36, 13
	s_mov_b32 s3, 0x3fda9628
	s_mov_b32 s20, 0x43842ef
	;; [unrolled: 1-line block ×4, first 2 shown]
	v_sub_nc_u16 v0, v61, v0
	s_mov_b32 s25, 0xbfc2375f
	s_mov_b32 s28, 0xbb3a28a1
	;; [unrolled: 1-line block ×4, first 2 shown]
	v_and_b32_e32 v37, 0xff, v0
	s_mov_b32 s17, 0xbfe4f49e
	s_mov_b32 s26, 0xfd768dbf
	;; [unrolled: 1-line block ×4, first 2 shown]
	v_mul_u32_u24_e32 v0, 10, v37
	s_mov_b32 s13, 0xbfeeb42a
	s_mov_b32 s7, 0x3fe14ced
	;; [unrolled: 1-line block ×3, first 2 shown]
	s_wait_alu 0xfffe
	s_mov_b32 s6, s14
	v_lshlrev_b32_e32 v0, 4, v0
	s_mov_b32 s18, s22
	s_mov_b32 s31, 0x3fefac9e
	;; [unrolled: 1-line block ×4, first 2 shown]
	s_clause 0x9
	global_load_b128 v[4:7], v0, s[4:5]
	global_load_b128 v[10:13], v0, s[4:5] offset:144
	global_load_b128 v[14:17], v0, s[4:5] offset:16
	;; [unrolled: 1-line block ×9, first 2 shown]
	ds_load_b128 v[66:69], v48 offset:2288
	ds_load_b128 v[0:3], v48
	s_mov_b32 s34, s26
	s_mov_b32 s37, 0x3fe82f19
	;; [unrolled: 1-line block ×3, first 2 shown]
	s_wait_loadcnt_dscnt 0x901
	v_mul_f64_e32 v[22:23], v[68:69], v[6:7]
	v_mul_f64_e32 v[28:29], v[66:67], v[6:7]
	ds_load_b128 v[6:9], v48 offset:22880
	ds_load_b128 v[70:73], v48 offset:4576
	ds_load_b128 v[74:77], v48 offset:20592
	ds_load_b128 v[78:81], v48 offset:6864
	ds_load_b128 v[82:85], v48 offset:18304
	ds_load_b128 v[86:89], v48 offset:9152
	ds_load_b128 v[90:93], v48 offset:11440
	ds_load_b128 v[94:97], v48 offset:16016
	ds_load_b128 v[98:101], v48 offset:13728
	global_wb scope:SCOPE_SE
	s_wait_loadcnt_dscnt 0x0
	s_barrier_signal -1
	s_barrier_wait -1
	global_inv scope:SCOPE_SE
	v_mul_f64_e32 v[34:35], v[6:7], v[12:13]
	v_mul_f64_e32 v[46:47], v[70:71], v[16:17]
	;; [unrolled: 1-line block ×13, first 2 shown]
	v_fma_f64 v[58:59], v[66:67], v[4:5], v[22:23]
	v_fma_f64 v[66:67], v[68:69], v[4:5], -v[28:29]
	v_mul_f64_e32 v[22:23], v[78:79], v[26:27]
	v_mul_f64_e32 v[28:29], v[82:83], v[32:33]
	;; [unrolled: 1-line block ×5, first 2 shown]
	v_fma_f64 v[4:5], v[8:9], v[10:11], -v[34:35]
	v_fma_f64 v[46:47], v[72:73], v[14:15], -v[46:47]
	;; [unrolled: 1-line block ×3, first 2 shown]
	v_fma_f64 v[49:50], v[70:71], v[14:15], v[16:17]
	v_fma_f64 v[16:17], v[96:97], v[42:43], -v[104:105]
	v_fma_f64 v[34:35], v[88:89], v[38:39], -v[40:41]
	v_add_f64_e32 v[70:71], v[0:1], v[58:59]
	v_add_f64_e32 v[72:73], v[2:3], v[66:67]
	v_fma_f64 v[22:23], v[80:81], v[24:25], -v[22:23]
	v_fma_f64 v[12:13], v[84:85], v[30:31], -v[28:29]
	v_fma_f64 v[6:7], v[6:7], v[10:11], v[68:69]
	v_fma_f64 v[10:11], v[74:75], v[18:19], v[20:21]
	;; [unrolled: 1-line block ×5, first 2 shown]
	v_fma_f64 v[26:27], v[92:93], v[54:55], -v[106:107]
	v_fma_f64 v[30:31], v[90:91], v[54:55], v[56:57]
	v_fma_f64 v[32:33], v[86:87], v[38:39], v[102:103]
	v_fma_f64 v[20:21], v[100:101], v[62:63], -v[108:109]
	v_fma_f64 v[24:25], v[98:99], v[62:63], v[64:65]
	v_add_f64_e64 v[38:39], v[66:67], -v[4:5]
	v_add_f64_e32 v[40:41], v[66:67], v[4:5]
	v_add_f64_e64 v[42:43], v[46:47], -v[8:9]
	v_add_f64_e32 v[44:45], v[46:47], v[8:9]
	v_add_f64_e32 v[76:77], v[34:35], v[16:17]
	;; [unrolled: 1-line block ×4, first 2 shown]
	v_add_f64_e64 v[72:73], v[34:35], -v[16:17]
	v_add_f64_e64 v[56:57], v[22:23], -v[12:13]
	v_add_f64_e32 v[62:63], v[22:23], v[12:13]
	v_add_f64_e32 v[64:65], v[58:59], v[6:7]
	v_add_f64_e64 v[58:59], v[58:59], -v[6:7]
	v_add_f64_e32 v[68:69], v[28:29], v[14:15]
	v_add_f64_e64 v[70:71], v[28:29], -v[14:15]
	;; [unrolled: 2-line block ×4, first 2 shown]
	v_add_f64_e64 v[78:79], v[26:27], -v[20:21]
	v_add_f64_e32 v[80:81], v[26:27], v[20:21]
	v_add_f64_e32 v[84:85], v[30:31], v[24:25]
	v_add_f64_e64 v[86:87], v[30:31], -v[24:25]
	v_mul_f64_e32 v[88:89], s[14:15], v[38:39]
	v_mul_f64_e32 v[90:91], s[0:1], v[40:41]
	;; [unrolled: 1-line block ×14, first 2 shown]
	s_wait_alu 0xfffe
	v_mul_f64_e32 v[112:113], s[30:31], v[42:43]
	v_mul_f64_e32 v[114:115], s[24:25], v[44:45]
	;; [unrolled: 1-line block ×5, first 2 shown]
	v_add_f64_e32 v[28:29], v[54:55], v[28:29]
	v_add_f64_e32 v[22:23], v[46:47], v[22:23]
	v_mul_f64_e32 v[46:47], s[34:35], v[42:43]
	v_mul_f64_e32 v[54:55], s[12:13], v[44:45]
	v_mul_f64_e32 v[42:43], s[6:7], v[42:43]
	v_mul_f64_e32 v[44:45], s[0:1], v[44:45]
	v_mul_f64_e32 v[116:117], s[20:21], v[56:57]
	v_mul_f64_e32 v[118:119], s[24:25], v[62:63]
	v_mul_f64_e32 v[120:121], s[34:35], v[56:57]
	v_mul_f64_e32 v[122:123], s[12:13], v[62:63]
	v_mul_f64_e32 v[124:125], s[18:19], v[56:57]
	v_mul_f64_e32 v[126:127], s[2:3], v[62:63]
	v_mul_f64_e32 v[128:129], s[14:15], v[56:57]
	v_mul_f64_e32 v[130:131], s[0:1], v[62:63]
	v_mul_f64_e32 v[56:57], s[28:29], v[56:57]
	v_mul_f64_e32 v[62:63], s[16:17], v[62:63]
	v_mul_f64_e32 v[132:133], s[28:29], v[72:73]
	v_mul_f64_e32 v[134:135], s[30:31], v[72:73]
	v_mul_f64_e32 v[136:137], s[14:15], v[72:73]
	v_mul_f64_e32 v[138:139], s[26:27], v[72:73]
	v_mul_f64_e32 v[72:73], s[18:19], v[72:73]
	v_fma_f64 v[164:165], v[64:65], s[2:3], v[92:93]
	v_fma_f64 v[166:167], v[58:59], s[18:19], v[94:95]
	v_fma_f64 v[92:93], v[64:65], s[2:3], -v[92:93]
	v_fma_f64 v[168:169], v[64:65], s[24:25], v[96:97]
	v_fma_f64 v[170:171], v[58:59], s[30:31], v[98:99]
	v_fma_f64 v[96:97], v[64:65], s[24:25], -v[96:97]
	v_fma_f64 v[172:173], v[64:65], s[16:17], v[100:101]
	v_fma_f64 v[174:175], v[58:59], s[36:37], v[102:103]
	;; [unrolled: 1-line block ×4, first 2 shown]
	v_fma_f64 v[100:101], v[64:65], s[16:17], -v[100:101]
	v_fma_f64 v[38:39], v[64:65], s[12:13], -v[38:39]
	v_fma_f64 v[40:41], v[58:59], s[26:27], v[40:41]
	v_fma_f64 v[102:103], v[58:59], s[28:29], v[102:103]
	v_fma_f64 v[98:99], v[58:59], s[20:21], v[98:99]
	v_fma_f64 v[94:95], v[58:59], s[22:23], v[94:95]
	v_fma_f64 v[180:181], v[66:67], s[16:17], v[108:109]
	v_add_f64_e32 v[28:29], v[28:29], v[32:33]
	v_add_f64_e32 v[22:23], v[22:23], v[34:35]
	v_fma_f64 v[32:33], v[64:65], s[0:1], v[88:89]
	v_fma_f64 v[34:35], v[58:59], s[6:7], v[90:91]
	v_fma_f64 v[88:89], v[64:65], s[0:1], -v[88:89]
	v_fma_f64 v[90:91], v[58:59], s[14:15], v[90:91]
	v_fma_f64 v[58:59], v[66:67], s[2:3], v[104:105]
	;; [unrolled: 1-line block ×3, first 2 shown]
	v_fma_f64 v[104:105], v[66:67], s[2:3], -v[104:105]
	v_fma_f64 v[106:107], v[49:50], s[22:23], v[106:107]
	v_fma_f64 v[182:183], v[49:50], s[36:37], v[110:111]
	v_fma_f64 v[108:109], v[66:67], s[16:17], -v[108:109]
	v_fma_f64 v[184:185], v[66:67], s[12:13], v[46:47]
	v_fma_f64 v[186:187], v[49:50], s[26:27], v[54:55]
	;; [unrolled: 3-line block ×4, first 2 shown]
	v_fma_f64 v[110:111], v[49:50], s[28:29], v[110:111]
	v_add_f64_e32 v[164:165], v[0:1], v[164:165]
	v_add_f64_e32 v[166:167], v[2:3], v[166:167]
	;; [unrolled: 1-line block ×11, first 2 shown]
	v_fma_f64 v[192:193], v[68:69], s[12:13], v[120:121]
	v_fma_f64 v[194:195], v[70:71], s[26:27], v[122:123]
	;; [unrolled: 1-line block ×3, first 2 shown]
	v_add_f64_e32 v[98:99], v[2:3], v[98:99]
	v_add_f64_e32 v[94:95], v[2:3], v[94:95]
	v_fma_f64 v[198:199], v[70:71], s[22:23], v[126:127]
	v_add_f64_e32 v[28:29], v[28:29], v[30:31]
	v_add_f64_e32 v[22:23], v[22:23], v[26:27]
	;; [unrolled: 1-line block ×3, first 2 shown]
	v_fma_f64 v[26:27], v[66:67], s[0:1], v[42:43]
	v_add_f64_e32 v[88:89], v[0:1], v[88:89]
	v_add_f64_e32 v[90:91], v[2:3], v[90:91]
	v_fma_f64 v[30:31], v[49:50], s[14:15], v[44:45]
	v_fma_f64 v[42:43], v[66:67], s[0:1], -v[42:43]
	v_fma_f64 v[44:45], v[49:50], s[6:7], v[44:45]
	v_add_f64_e32 v[0:1], v[0:1], v[38:39]
	v_add_f64_e32 v[38:39], v[2:3], v[40:41]
	;; [unrolled: 1-line block ×4, first 2 shown]
	v_fma_f64 v[49:50], v[68:69], s[24:25], v[116:117]
	v_fma_f64 v[66:67], v[70:71], s[30:31], v[118:119]
	v_fma_f64 v[116:117], v[68:69], s[24:25], -v[116:117]
	v_fma_f64 v[118:119], v[70:71], s[20:21], v[118:119]
	v_mul_f64_e32 v[146:147], s[12:13], v[76:77]
	v_fma_f64 v[120:121], v[68:69], s[12:13], -v[120:121]
	v_fma_f64 v[124:125], v[68:69], s[2:3], -v[124:125]
	v_fma_f64 v[34:35], v[68:69], s[16:17], v[56:57]
	v_fma_f64 v[56:57], v[68:69], s[16:17], -v[56:57]
	v_mul_f64_e32 v[76:77], s[2:3], v[76:77]
	v_add_f64_e32 v[92:93], v[108:109], v[92:93]
	v_fma_f64 v[102:103], v[70:71], s[14:15], v[130:131]
	v_add_f64_e32 v[108:109], v[186:187], v[170:171]
	v_add_f64_e32 v[46:47], v[46:47], v[96:97]
	;; [unrolled: 1-line block ×3, first 2 shown]
	v_fma_f64 v[126:127], v[70:71], s[18:19], v[126:127]
	v_fma_f64 v[122:123], v[70:71], s[34:35], v[122:123]
	v_mul_f64_e32 v[152:153], s[6:7], v[78:79]
	v_add_f64_e32 v[100:101], v[112:113], v[100:101]
	v_mul_f64_e32 v[154:155], s[0:1], v[80:81]
	v_mul_f64_e32 v[148:149], s[26:27], v[78:79]
	;; [unrolled: 1-line block ×6, first 2 shown]
	v_add_f64_e32 v[24:25], v[28:29], v[24:25]
	v_add_f64_e32 v[20:21], v[22:23], v[20:21]
	;; [unrolled: 1-line block ×3, first 2 shown]
	v_fma_f64 v[22:23], v[68:69], s[0:1], v[128:129]
	v_add_f64_e32 v[58:59], v[104:105], v[88:89]
	v_add_f64_e32 v[88:89], v[106:107], v[90:91]
	;; [unrolled: 1-line block ×5, first 2 shown]
	v_fma_f64 v[28:29], v[68:69], s[0:1], -v[128:129]
	v_fma_f64 v[68:69], v[70:71], s[6:7], v[130:131]
	v_add_f64_e32 v[164:165], v[190:191], v[174:175]
	v_fma_f64 v[128:129], v[70:71], s[36:37], v[62:63]
	v_add_f64_e32 v[26:27], v[26:27], v[176:177]
	v_add_f64_e32 v[30:31], v[30:31], v[178:179]
	v_fma_f64 v[62:63], v[70:71], s[28:29], v[62:63]
	v_add_f64_e32 v[0:1], v[42:43], v[0:1]
	v_add_f64_e32 v[38:39], v[44:45], v[38:39]
	;; [unrolled: 1-line block ×6, first 2 shown]
	v_fma_f64 v[70:71], v[74:75], s[16:17], v[132:133]
	v_fma_f64 v[130:131], v[74:75], s[16:17], -v[132:133]
	v_fma_f64 v[132:133], v[74:75], s[24:25], v[134:135]
	v_fma_f64 v[64:65], v[82:83], s[28:29], v[140:141]
	v_mul_f64_e32 v[162:163], s[2:3], v[80:81]
	v_mul_f64_e32 v[78:79], s[20:21], v[78:79]
	;; [unrolled: 1-line block ×3, first 2 shown]
	v_fma_f64 v[200:201], v[74:75], s[0:1], v[136:137]
	v_fma_f64 v[94:95], v[82:83], s[6:7], v[144:145]
	;; [unrolled: 1-line block ×4, first 2 shown]
	v_fma_f64 v[134:135], v[74:75], s[24:25], -v[134:135]
	v_fma_f64 v[114:115], v[82:83], s[22:23], v[76:77]
	v_add_f64_e32 v[92:93], v[120:121], v[92:93]
	v_fma_f64 v[76:77], v[82:83], s[18:19], v[76:77]
	v_fma_f64 v[138:139], v[74:75], s[12:13], -v[138:139]
	v_add_f64_e32 v[18:19], v[24:25], v[18:19]
	v_add_f64_e32 v[16:17], v[20:21], v[16:17]
	v_fma_f64 v[20:21], v[74:75], s[2:3], v[72:73]
	v_fma_f64 v[24:25], v[74:75], s[2:3], -v[72:73]
	v_fma_f64 v[72:73], v[82:83], s[20:21], v[142:143]
	v_add_f64_e32 v[32:33], v[49:50], v[32:33]
	v_add_f64_e32 v[49:50], v[116:117], v[58:59]
	;; [unrolled: 1-line block ×13, first 2 shown]
	v_fma_f64 v[112:113], v[82:83], s[26:27], v[146:147]
	v_add_f64_e32 v[28:29], v[28:29], v[100:101]
	v_add_f64_e32 v[38:39], v[102:103], v[40:41]
	v_fma_f64 v[136:137], v[74:75], s[0:1], -v[136:137]
	v_fma_f64 v[98:99], v[82:83], s[14:15], v[144:145]
	v_add_f64_e32 v[46:47], v[124:125], v[46:47]
	v_add_f64_e32 v[40:41], v[126:127], v[42:43]
	v_fma_f64 v[74:75], v[82:83], s[30:31], v[142:143]
	v_add_f64_e32 v[42:43], v[122:123], v[44:45]
	v_fma_f64 v[54:55], v[82:83], s[36:37], v[140:141]
	v_add_f64_e32 v[2:3], v[66:67], v[2:3]
	v_fma_f64 v[82:83], v[84:85], s[12:13], v[148:149]
	v_fma_f64 v[140:141], v[86:87], s[34:35], v[150:151]
	v_fma_f64 v[142:143], v[84:85], s[12:13], -v[148:149]
	v_fma_f64 v[144:145], v[86:87], s[26:27], v[150:151]
	v_fma_f64 v[44:45], v[84:85], s[0:1], -v[152:153]
	v_fma_f64 v[56:57], v[86:87], s[6:7], v[154:155]
	v_fma_f64 v[62:63], v[84:85], s[16:17], v[156:157]
	;; [unrolled: 1-line block ×3, first 2 shown]
	v_fma_f64 v[96:97], v[84:85], s[16:17], -v[156:157]
	v_add_f64_e32 v[14:15], v[18:19], v[14:15]
	v_add_f64_e32 v[12:13], v[16:17], v[12:13]
	v_fma_f64 v[16:17], v[84:85], s[0:1], v[152:153]
	v_fma_f64 v[18:19], v[86:87], s[14:15], v[154:155]
	;; [unrolled: 1-line block ×3, first 2 shown]
	v_add_f64_e32 v[32:33], v[70:71], v[32:33]
	v_fma_f64 v[102:103], v[84:85], s[2:3], v[160:161]
	v_add_f64_e32 v[58:59], v[64:65], v[58:59]
	v_add_f64_e32 v[64:65], v[132:133], v[88:89]
	;; [unrolled: 1-line block ×3, first 2 shown]
	v_fma_f64 v[108:109], v[86:87], s[22:23], v[162:163]
	v_fma_f64 v[116:117], v[84:85], s[2:3], -v[160:161]
	v_fma_f64 v[118:119], v[86:87], s[18:19], v[162:163]
	v_fma_f64 v[120:121], v[84:85], s[24:25], v[78:79]
	;; [unrolled: 1-line block ×3, first 2 shown]
	v_fma_f64 v[78:79], v[84:85], s[24:25], -v[78:79]
	v_fma_f64 v[80:81], v[86:87], s[20:21], v[80:81]
	v_add_f64_e32 v[84:85], v[200:201], v[104:105]
	v_add_f64_e32 v[86:87], v[94:95], v[106:107]
	;; [unrolled: 1-line block ×40, first 2 shown]
	v_and_b32_e32 v4, 0xffff, v36
	v_lshlrev_b32_e32 v5, 4, v37
	s_delay_alu instid0(VALU_DEP_2) | instskip(NEXT) | instid1(VALU_DEP_1)
	v_mul_u32_u24_e32 v4, 0x8f0, v4
	v_add3_u32 v4, 0, v4, v5
	ds_store_b128 v4, v[12:15] offset:416
	ds_store_b128 v4, v[20:23] offset:624
	;; [unrolled: 1-line block ×10, first 2 shown]
	ds_store_b128 v4, v[54:57]
	global_wb scope:SCOPE_SE
	s_wait_dscnt 0x0
	s_barrier_signal -1
	s_barrier_wait -1
	global_inv scope:SCOPE_SE
	s_and_saveexec_b32 s33, vcc_lo
	s_cbranch_execz .LBB0_17
; %bb.16:
	v_add_nc_u32_e32 v134, 0x596, v60
	v_mul_u32_u24_e32 v0, 10, v61
	v_add_nc_u32_e32 v131, 0x3e9, v60
	v_mad_co_u64_u32 v[89:90], null, s8, v60, 0
	s_delay_alu instid0(VALU_DEP_4) | instskip(SKIP_4) | instid1(VALU_DEP_4)
	v_mad_co_u64_u32 v[105:106], null, s8, v134, 0
	v_add_nc_u32_e32 v133, 0x507, v60
	v_lshlrev_b64_e32 v[52:53], 4, v[52:53]
	v_add_nc_u32_e32 v132, 0x478, v60
	v_add_nc_u32_e32 v127, 0x1ad, v60
	v_mad_co_u64_u32 v[103:104], null, s8, v133, 0
	v_add_nc_u32_e32 v126, 0x11e, v60
	s_delay_alu instid0(VALU_DEP_3) | instskip(NEXT) | instid1(VALU_DEP_2)
	v_mad_co_u64_u32 v[95:96], null, s8, v127, 0
	v_mad_co_u64_u32 v[93:94], null, s8, v126, 0
	v_add_nc_u32_e32 v121, 0x8f, v60
	s_delay_alu instid0(VALU_DEP_1)
	v_mad_co_u64_u32 v[91:92], null, s8, v121, 0
	v_lshlrev_b32_e32 v0, 4, v0
	s_clause 0x9
	global_load_b128 v[24:27], v0, s[4:5] offset:2080
	global_load_b128 v[12:15], v0, s[4:5] offset:2096
	;; [unrolled: 1-line block ×10, first 2 shown]
	ds_load_b128 v[44:47], v48 offset:2288
	ds_load_b128 v[0:3], v48
	ds_load_b128 v[54:57], v48 offset:11440
	ds_load_b128 v[61:64], v48 offset:9152
	;; [unrolled: 1-line block ×9, first 2 shown]
	s_wait_loadcnt_dscnt 0x90a
	v_mul_f64_e32 v[58:59], v[44:45], v[26:27]
	v_mul_f64_e32 v[26:27], v[26:27], v[46:47]
	s_wait_loadcnt_dscnt 0x704
	v_mul_f64_e32 v[107:108], v[10:11], v[75:76]
	v_mul_f64_e32 v[10:11], v[73:74], v[10:11]
	s_wait_dscnt 0x3
	v_mul_f64_e32 v[101:102], v[77:78], v[14:15]
	v_mul_f64_e32 v[14:15], v[14:15], v[79:80]
	s_wait_loadcnt_dscnt 0x602
	v_mul_f64_e32 v[109:110], v[6:7], v[83:84]
	v_mul_f64_e32 v[111:112], v[81:82], v[6:7]
	v_add_co_u32 v6, vcc_lo, s10, v52
	s_wait_alu 0xfffd
	v_add_co_ci_u32_e32 v7, vcc_lo, s11, v53, vcc_lo
	v_mad_co_u64_u32 v[52:53], null, s9, v60, v[90:91]
	v_mov_b32_e32 v53, v92
	s_wait_loadcnt_dscnt 0x501
	v_mul_f64_e32 v[113:114], v[42:43], v[87:88]
	s_wait_loadcnt_dscnt 0x400
	v_mul_f64_e32 v[115:116], v[38:39], v[50:51]
	v_mul_f64_e32 v[42:43], v[85:86], v[42:43]
	;; [unrolled: 1-line block ×3, first 2 shown]
	s_wait_loadcnt 0x3
	v_mul_f64_e32 v[117:118], v[34:35], v[56:57]
	s_wait_loadcnt 0x2
	v_mul_f64_e32 v[119:120], v[30:31], v[67:68]
	v_mul_f64_e32 v[34:35], v[54:55], v[34:35]
	;; [unrolled: 1-line block ×3, first 2 shown]
	s_wait_loadcnt 0x0
	v_mul_f64_e32 v[124:125], v[18:19], v[71:72]
	v_mul_f64_e32 v[18:19], v[69:70], v[18:19]
	v_mov_b32_e32 v90, v96
	v_fma_f64 v[46:47], v[24:25], v[46:47], -v[58:59]
	v_fma_f64 v[24:25], v[24:25], v[44:45], v[26:27]
	v_mad_co_u64_u32 v[26:27], null, s8, v131, 0
	v_fma_f64 v[73:74], v[8:9], v[73:74], v[107:108]
	v_fma_f64 v[8:9], v[8:9], v[75:76], -v[10:11]
	v_mad_co_u64_u32 v[44:45], null, s8, v132, 0
	v_fma_f64 v[79:80], v[12:13], v[79:80], -v[101:102]
	v_fma_f64 v[12:13], v[12:13], v[77:78], v[14:15]
	v_mad_co_u64_u32 v[75:76], null, s9, v131, v[27:28]
	v_add_nc_u32_e32 v128, 0x23c, v60
	v_fma_f64 v[81:82], v[4:5], v[81:82], v[109:110]
	v_fma_f64 v[4:5], v[4:5], v[83:84], -v[111:112]
	v_fma_f64 v[10:11], v[40:41], v[85:86], v[113:114]
	v_fma_f64 v[48:49], v[36:37], v[48:49], v[115:116]
	v_fma_f64 v[40:41], v[40:41], v[87:88], -v[42:43]
	v_mov_b32_e32 v27, v75
	v_mad_co_u64_u32 v[97:98], null, s8, v128, 0
	v_add_nc_u32_e32 v129, 0x2cb, v60
	v_fma_f64 v[36:37], v[36:37], v[50:51], -v[38:39]
	v_fma_f64 v[38:39], v[32:33], v[54:55], v[117:118]
	v_mov_b32_e32 v77, v104
	v_fma_f64 v[42:43], v[28:29], v[65:66], v[119:120]
	v_fma_f64 v[32:33], v[32:33], v[56:57], -v[34:35]
	v_mov_b32_e32 v92, v98
	v_mad_co_u64_u32 v[99:100], null, s8, v129, 0
	v_fma_f64 v[28:29], v[28:29], v[67:68], -v[30:31]
	v_lshlrev_b64_e32 v[86:87], 4, v[26:27]
	v_mov_b32_e32 v78, v106
	s_delay_alu instid0(VALU_DEP_1)
	v_mad_co_u64_u32 v[30:31], null, s9, v133, v[77:78]
	v_add_f64_e32 v[14:15], v[24:25], v[0:1]
	v_mad_co_u64_u32 v[83:84], null, s9, v132, v[45:46]
	v_add_nc_u32_e32 v130, 0x35a, v60
	v_mov_b32_e32 v60, v94
	v_mov_b32_e32 v94, v100
	v_add_f64_e32 v[100:101], v[2:3], v[46:47]
	v_mad_co_u64_u32 v[121:122], null, s9, v121, v[53:54]
	v_mov_b32_e32 v45, v83
	v_mul_f64_e32 v[122:123], v[22:23], v[63:64]
	v_mul_f64_e32 v[22:23], v[61:62], v[22:23]
	v_mad_co_u64_u32 v[58:59], null, s8, v130, 0
	v_mad_co_u64_u32 v[53:54], null, s9, v127, v[90:91]
	;; [unrolled: 1-line block ×6, first 2 shown]
	v_add_f64_e64 v[66:67], v[79:80], -v[40:41]
	v_mov_b32_e32 v96, v53
	v_mov_b32_e32 v98, v54
	v_add_f64_e64 v[53:54], v[24:25], -v[48:49]
	v_mad_co_u64_u32 v[34:35], null, s9, v134, v[78:79]
	v_mov_b32_e32 v94, v50
	v_mov_b32_e32 v92, v121
	v_lshlrev_b64_e32 v[75:76], 4, v[97:98]
	v_add_f64_e32 v[24:25], v[24:25], v[48:49]
	v_mov_b32_e32 v104, v30
	v_mov_b32_e32 v90, v52
	;; [unrolled: 1-line block ×3, first 2 shown]
	v_lshlrev_b64_e32 v[34:35], 4, v[93:94]
	v_add_f64_e32 v[14:15], v[12:13], v[14:15]
	v_lshlrev_b64_e32 v[30:31], 4, v[91:92]
	v_lshlrev_b64_e32 v[51:52], 4, v[89:90]
	;; [unrolled: 1-line block ×4, first 2 shown]
	v_add_f64_e32 v[102:103], v[38:39], v[42:43]
	v_add_f64_e32 v[84:85], v[79:80], v[100:101]
	v_mov_b32_e32 v100, v65
	v_add_f64_e32 v[79:80], v[79:80], v[40:41]
	v_lshlrev_b64_e32 v[57:58], 4, v[58:59]
	v_fma_f64 v[55:56], v[20:21], v[61:62], v[122:123]
	v_fma_f64 v[60:61], v[16:17], v[69:70], v[124:125]
	v_fma_f64 v[20:21], v[20:21], v[63:64], -v[22:23]
	v_fma_f64 v[16:17], v[16:17], v[71:72], -v[18:19]
	v_add_f64_e64 v[62:63], v[8:9], -v[4:5]
	v_add_f64_e64 v[68:69], v[46:47], -v[36:37]
	;; [unrolled: 1-line block ×4, first 2 shown]
	v_lshlrev_b64_e32 v[64:65], 4, v[95:96]
	v_add_f64_e32 v[12:13], v[12:13], v[10:11]
	v_lshlrev_b64_e32 v[77:78], 4, v[99:100]
	v_add_f64_e32 v[46:47], v[46:47], v[36:37]
	v_add_f64_e64 v[98:99], v[32:33], -v[28:29]
	v_add_f64_e64 v[70:71], v[38:39], -v[42:43]
	v_mul_f64_e32 v[112:113], s[6:7], v[66:67]
	v_mul_f64_e32 v[128:129], s[30:31], v[66:67]
	;; [unrolled: 1-line block ×8, first 2 shown]
	v_add_co_u32 v50, vcc_lo, v6, v51
	s_wait_alu 0xfffd
	v_add_co_ci_u32_e32 v51, vcc_lo, v7, v52, vcc_lo
	v_add_f64_e32 v[14:15], v[73:74], v[14:15]
	v_add_f64_e32 v[72:73], v[73:74], v[81:82]
	;; [unrolled: 1-line block ×3, first 2 shown]
	v_lshlrev_b64_e32 v[83:84], 4, v[44:45]
	v_add_f64_e32 v[44:45], v[32:33], v[28:29]
	v_add_f64_e32 v[8:9], v[8:9], v[4:5]
	v_add_f64_e64 v[92:93], v[55:56], -v[60:61]
	v_add_f64_e32 v[100:101], v[55:56], v[60:61]
	v_add_f64_e32 v[94:95], v[20:21], v[16:17]
	v_add_f64_e64 v[96:97], v[20:21], -v[16:17]
	v_mul_f64_e32 v[110:111], s[28:29], v[62:63]
	v_mul_f64_e32 v[114:115], s[26:27], v[68:69]
	;; [unrolled: 1-line block ×9, first 2 shown]
	v_fma_f64 v[186:187], v[12:13], s[0:1], -v[112:113]
	v_mul_f64_e32 v[118:119], s[14:15], v[18:19]
	v_mul_f64_e32 v[124:125], s[14:15], v[62:63]
	v_fma_f64 v[182:183], v[46:47], s[12:13], v[108:109]
	v_fma_f64 v[108:109], v[46:47], s[12:13], -v[108:109]
	v_fma_f64 v[190:191], v[46:47], s[16:17], v[122:123]
	v_fma_f64 v[122:123], v[46:47], s[16:17], -v[122:123]
	v_fma_f64 v[196:197], v[46:47], s[24:25], v[132:133]
	v_fma_f64 v[132:133], v[46:47], s[24:25], -v[132:133]
	v_fma_f64 v[200:201], v[46:47], s[2:3], v[140:141]
	v_fma_f64 v[140:141], v[46:47], s[2:3], -v[140:141]
	v_fma_f64 v[204:205], v[46:47], s[0:1], -v[53:54]
	v_fma_f64 v[46:47], v[46:47], s[0:1], v[53:54]
	v_mul_f64_e32 v[130:131], s[18:19], v[18:19]
	v_add_f64_e32 v[14:15], v[55:56], v[14:15]
	v_mul_f64_e32 v[55:56], s[14:15], v[68:69]
	v_mul_f64_e32 v[68:69], s[28:29], v[22:23]
	;; [unrolled: 1-line block ×5, first 2 shown]
	v_add_f64_e32 v[20:21], v[20:21], v[26:27]
	v_mul_f64_e32 v[26:27], s[34:35], v[66:67]
	v_mul_f64_e32 v[66:67], s[22:23], v[66:67]
	;; [unrolled: 1-line block ×8, first 2 shown]
	v_fma_f64 v[184:185], v[72:73], s[16:17], -v[110:111]
	v_fma_f64 v[188:189], v[24:25], s[12:13], -v[114:115]
	;; [unrolled: 1-line block ×3, first 2 shown]
	v_fma_f64 v[126:127], v[24:25], s[16:17], v[126:127]
	v_fma_f64 v[198:199], v[24:25], s[24:25], -v[134:135]
	v_fma_f64 v[134:135], v[24:25], s[24:25], v[134:135]
	v_fma_f64 v[202:203], v[24:25], s[2:3], -v[142:143]
	v_fma_f64 v[142:143], v[24:25], s[2:3], v[142:143]
	v_fma_f64 v[180:181], v[79:80], s[0:1], v[106:107]
	v_fma_f64 v[106:107], v[79:80], s[0:1], -v[106:107]
	v_fma_f64 v[208:209], v[79:80], s[12:13], v[136:137]
	v_fma_f64 v[136:137], v[79:80], s[12:13], -v[136:137]
	v_add_f64_e32 v[182:183], v[2:3], v[182:183]
	v_add_f64_e32 v[108:109], v[2:3], v[108:109]
	;; [unrolled: 1-line block ×10, first 2 shown]
	v_mul_f64_e32 v[156:157], s[26:27], v[96:97]
	v_add_f64_e32 v[14:15], v[38:39], v[14:15]
	v_fma_f64 v[53:54], v[24:25], s[0:1], -v[55:56]
	v_fma_f64 v[214:215], v[79:80], s[16:17], -v[68:69]
	v_fma_f64 v[68:69], v[79:80], s[16:17], v[68:69]
	v_mul_f64_e32 v[162:163], s[14:15], v[92:93]
	v_mul_f64_e32 v[164:165], s[14:15], v[96:97]
	v_add_f64_e32 v[20:21], v[32:33], v[20:21]
	v_fma_f64 v[32:33], v[72:73], s[16:17], v[110:111]
	v_fma_f64 v[110:111], v[12:13], s[0:1], v[112:113]
	;; [unrolled: 1-line block ×5, first 2 shown]
	v_fma_f64 v[55:56], v[12:13], s[24:25], -v[128:129]
	v_fma_f64 v[120:121], v[79:80], s[24:25], -v[120:121]
	v_fma_f64 v[128:129], v[12:13], s[24:25], v[128:129]
	v_fma_f64 v[212:213], v[12:13], s[12:13], -v[26:27]
	v_add_f64_e32 v[188:189], v[0:1], v[188:189]
	v_add_f64_e32 v[194:195], v[0:1], v[194:195]
	;; [unrolled: 1-line block ×7, first 2 shown]
	v_fma_f64 v[26:27], v[12:13], s[12:13], v[26:27]
	v_mul_f64_e32 v[166:167], s[30:31], v[92:93]
	v_mul_f64_e32 v[168:169], s[30:31], v[96:97]
	;; [unrolled: 1-line block ×4, first 2 shown]
	v_fma_f64 v[178:179], v[8:9], s[16:17], v[104:105]
	v_fma_f64 v[104:105], v[8:9], s[16:17], -v[104:105]
	v_fma_f64 v[38:39], v[8:9], s[0:1], v[118:119]
	v_fma_f64 v[118:119], v[8:9], s[0:1], -v[118:119]
	;; [unrolled: 2-line block ×3, first 2 shown]
	v_fma_f64 v[192:193], v[72:73], s[0:1], -v[124:125]
	v_fma_f64 v[124:125], v[72:73], s[0:1], v[124:125]
	v_add_f64_e32 v[106:107], v[106:107], v[108:109]
	v_fma_f64 v[210:211], v[72:73], s[2:3], -v[138:139]
	v_add_f64_e32 v[14:15], v[42:43], v[14:15]
	v_fma_f64 v[42:43], v[12:13], s[2:3], v[66:67]
	v_add_f64_e32 v[46:47], v[0:1], v[53:54]
	v_fma_f64 v[53:54], v[8:9], s[12:13], v[144:145]
	v_fma_f64 v[144:145], v[8:9], s[12:13], -v[144:145]
	v_fma_f64 v[138:139], v[72:73], s[2:3], v[138:139]
	v_add_f64_e32 v[20:21], v[28:29], v[20:21]
	v_fma_f64 v[28:29], v[79:80], s[2:3], -v[22:23]
	v_fma_f64 v[22:23], v[79:80], s[2:3], v[22:23]
	v_add_f64_e32 v[112:113], v[0:1], v[112:113]
	v_add_f64_e32 v[0:1], v[0:1], v[24:25]
	v_fma_f64 v[24:25], v[12:13], s[16:17], v[148:149]
	v_fma_f64 v[148:149], v[12:13], s[16:17], -v[148:149]
	v_fma_f64 v[12:13], v[12:13], s[2:3], -v[66:67]
	v_fma_f64 v[79:80], v[72:73], s[12:13], -v[146:147]
	v_fma_f64 v[66:67], v[72:73], s[12:13], v[146:147]
	v_fma_f64 v[146:147], v[8:9], s[24:25], v[18:19]
	v_fma_f64 v[8:9], v[8:9], s[24:25], -v[18:19]
	v_fma_f64 v[18:19], v[72:73], s[24:25], -v[62:63]
	v_fma_f64 v[62:63], v[72:73], s[24:25], v[62:63]
	v_add_f64_e32 v[114:115], v[114:115], v[190:191]
	v_add_f64_e32 v[120:121], v[120:121], v[122:123]
	;; [unrolled: 1-line block ×8, first 2 shown]
	v_mul_f64_e32 v[158:159], s[20:21], v[98:99]
	v_fma_f64 v[108:109], v[100:101], s[2:3], -v[152:153]
	v_fma_f64 v[152:153], v[100:101], s[2:3], v[152:153]
	v_mul_f64_e32 v[116:117], s[20:21], v[70:71]
	v_mul_f64_e32 v[160:161], s[18:19], v[70:71]
	;; [unrolled: 1-line block ×7, first 2 shown]
	v_add_f64_e32 v[14:15], v[60:61], v[14:15]
	v_add_f64_e32 v[59:60], v[68:69], v[200:201]
	v_mul_f64_e32 v[70:71], s[26:27], v[70:71]
	v_mul_f64_e32 v[98:99], s[26:27], v[98:99]
	v_fma_f64 v[188:189], v[94:95], s[2:3], v[150:151]
	v_fma_f64 v[150:151], v[94:95], s[2:3], -v[150:151]
	v_add_f64_e32 v[16:17], v[16:17], v[20:21]
	v_add_f64_e32 v[28:29], v[28:29], v[204:205]
	;; [unrolled: 1-line block ×11, first 2 shown]
	v_fma_f64 v[112:113], v[94:95], s[12:13], v[154:155]
	v_fma_f64 v[154:155], v[94:95], s[12:13], -v[154:155]
	v_fma_f64 v[46:47], v[94:95], s[0:1], v[162:163]
	v_fma_f64 v[134:135], v[94:95], s[0:1], -v[162:163]
	;; [unrolled: 2-line block ×4, first 2 shown]
	v_fma_f64 v[94:95], v[100:101], s[16:17], -v[96:97]
	v_fma_f64 v[96:97], v[100:101], s[16:17], v[96:97]
	v_fma_f64 v[190:191], v[100:101], s[12:13], -v[156:157]
	v_fma_f64 v[22:23], v[100:101], s[12:13], v[156:157]
	v_fma_f64 v[156:157], v[100:101], s[24:25], v[168:169]
	v_add_f64_e32 v[104:105], v[104:105], v[106:107]
	v_add_f64_e32 v[38:39], v[38:39], v[114:115]
	;; [unrolled: 1-line block ×4, first 2 shown]
	v_fma_f64 v[136:137], v[100:101], s[0:1], v[164:165]
	v_add_f64_e32 v[166:167], v[184:185], v[186:187]
	v_add_f64_e32 v[114:115], v[130:131], v[126:127]
	v_fma_f64 v[132:133], v[100:101], s[0:1], -v[164:165]
	v_add_f64_e32 v[14:15], v[81:82], v[14:15]
	v_add_f64_e32 v[164:165], v[178:179], v[180:181]
	;; [unrolled: 1-line block ×3, first 2 shown]
	v_fma_f64 v[142:143], v[100:101], s[24:25], -v[168:169]
	v_fma_f64 v[100:101], v[102:103], s[24:25], -v[158:159]
	v_fma_f64 v[158:159], v[102:103], s[24:25], v[158:159]
	v_add_f64_e32 v[4:5], v[4:5], v[16:17]
	v_add_f64_e32 v[8:9], v[8:9], v[28:29]
	v_add_f64_e32 v[28:29], v[53:54], v[59:60]
	v_add_f64_e32 v[32:33], v[32:33], v[110:111]
	v_add_f64_e32 v[0:1], v[62:63], v[0:1]
	v_add_f64_e32 v[110:111], v[124:125], v[122:123]
	v_add_f64_e32 v[16:17], v[66:67], v[20:21]
	v_add_f64_e32 v[20:21], v[138:139], v[24:25]
	v_add_f64_e32 v[24:25], v[206:207], v[26:27]
	v_add_f64_e32 v[26:27], v[210:211], v[42:43]
	v_add_f64_e32 v[42:43], v[79:80], v[68:69]
	v_add_f64_e32 v[2:3], v[146:147], v[2:3]
	v_add_f64_e32 v[12:13], v[18:19], v[12:13]
	v_fma_f64 v[182:183], v[44:45], s[24:25], v[116:117]
	v_fma_f64 v[116:117], v[44:45], s[24:25], -v[116:117]
	v_fma_f64 v[18:19], v[44:45], s[2:3], v[160:161]
	v_fma_f64 v[59:60], v[44:45], s[2:3], -v[160:161]
	;; [unrolled: 2-line block ×6, first 2 shown]
	v_fma_f64 v[72:73], v[102:103], s[0:1], v[72:73]
	v_add_f64_e32 v[38:39], v[112:113], v[38:39]
	v_fma_f64 v[53:54], v[102:103], s[2:3], -v[170:171]
	v_fma_f64 v[61:62], v[102:103], s[2:3], v[170:171]
	v_fma_f64 v[68:69], v[102:103], s[16:17], -v[174:175]
	v_fma_f64 v[81:82], v[102:103], s[16:17], v[174:175]
	v_fma_f64 v[128:129], v[102:103], s[12:13], -v[98:99]
	v_add_f64_e32 v[102:103], v[108:109], v[166:167]
	v_add_f64_e32 v[108:109], v[134:135], v[114:115]
	;; [unrolled: 1-line block ×21, first 2 shown]
	v_add_co_u32 v134, vcc_lo, v6, v30
	s_wait_alu 0xfffd
	v_add_co_ci_u32_e32 v135, vcc_lo, v7, v31, vcc_lo
	v_add_co_u32 v136, vcc_lo, v6, v34
	s_wait_alu 0xfffd
	v_add_co_ci_u32_e32 v137, vcc_lo, v7, v35, vcc_lo
	;; [unrolled: 3-line block ×3, first 2 shown]
	v_add_f64_e32 v[14:15], v[18:19], v[38:39]
	v_add_f64_e32 v[0:1], v[100:101], v[102:103]
	;; [unrolled: 1-line block ×7, first 2 shown]
	v_add_co_u32 v4, vcc_lo, v6, v75
	v_add_f64_e32 v[8:9], v[158:159], v[32:33]
	v_add_f64_e32 v[32:33], v[48:49], v[40:41]
	v_add_f64_e32 v[30:31], v[44:45], v[92:93]
	v_add_f64_e32 v[28:29], v[70:71], v[96:97]
	v_add_f64_e32 v[26:27], v[124:125], v[110:111]
	v_add_f64_e32 v[24:25], v[72:73], v[112:113]
	v_add_f64_e32 v[16:17], v[61:62], v[22:23]
	v_add_f64_e32 v[22:23], v[79:80], v[108:109]
	v_add_f64_e32 v[20:21], v[81:82], v[20:21]
	v_add_f64_e32 v[38:39], v[66:67], v[46:47]
	v_add_f64_e32 v[36:37], v[68:69], v[114:115]
	v_add_f64_e32 v[42:43], v[120:121], v[118:119]
	v_add_f64_e32 v[40:41], v[122:123], v[130:131]
	v_add_f64_e32 v[46:47], v[126:127], v[132:133]
	v_add_f64_e32 v[44:45], v[128:129], v[94:95]
	s_wait_alu 0xfffd
	v_add_co_ci_u32_e32 v5, vcc_lo, v7, v76, vcc_lo
	v_add_co_u32 v48, vcc_lo, v6, v77
	s_wait_alu 0xfffd
	v_add_co_ci_u32_e32 v49, vcc_lo, v7, v78, vcc_lo
	v_add_co_u32 v52, vcc_lo, v6, v57
	;; [unrolled: 3-line block ×6, first 2 shown]
	s_wait_alu 0xfffd
	v_add_co_ci_u32_e32 v7, vcc_lo, v7, v91, vcc_lo
	s_clause 0xa
	global_store_b128 v[50:51], v[32:35], off
	global_store_b128 v[134:135], v[28:31], off
	;; [unrolled: 1-line block ×11, first 2 shown]
.LBB0_17:
	s_nop 0
	s_sendmsg sendmsg(MSG_DEALLOC_VGPRS)
	s_endpgm
	.section	.rodata,"a",@progbits
	.p2align	6, 0x0
	.amdhsa_kernel fft_rtc_back_len1573_factors_13_11_11_wgs_143_tpt_143_dp_ip_CI_sbrr_dirReg
		.amdhsa_group_segment_fixed_size 0
		.amdhsa_private_segment_fixed_size 0
		.amdhsa_kernarg_size 88
		.amdhsa_user_sgpr_count 2
		.amdhsa_user_sgpr_dispatch_ptr 0
		.amdhsa_user_sgpr_queue_ptr 0
		.amdhsa_user_sgpr_kernarg_segment_ptr 1
		.amdhsa_user_sgpr_dispatch_id 0
		.amdhsa_user_sgpr_private_segment_size 0
		.amdhsa_wavefront_size32 1
		.amdhsa_uses_dynamic_stack 0
		.amdhsa_enable_private_segment 0
		.amdhsa_system_sgpr_workgroup_id_x 1
		.amdhsa_system_sgpr_workgroup_id_y 0
		.amdhsa_system_sgpr_workgroup_id_z 0
		.amdhsa_system_sgpr_workgroup_info 0
		.amdhsa_system_vgpr_workitem_id 0
		.amdhsa_next_free_vgpr 216
		.amdhsa_next_free_sgpr 44
		.amdhsa_reserve_vcc 1
		.amdhsa_float_round_mode_32 0
		.amdhsa_float_round_mode_16_64 0
		.amdhsa_float_denorm_mode_32 3
		.amdhsa_float_denorm_mode_16_64 3
		.amdhsa_fp16_overflow 0
		.amdhsa_workgroup_processor_mode 1
		.amdhsa_memory_ordered 1
		.amdhsa_forward_progress 0
		.amdhsa_round_robin_scheduling 0
		.amdhsa_exception_fp_ieee_invalid_op 0
		.amdhsa_exception_fp_denorm_src 0
		.amdhsa_exception_fp_ieee_div_zero 0
		.amdhsa_exception_fp_ieee_overflow 0
		.amdhsa_exception_fp_ieee_underflow 0
		.amdhsa_exception_fp_ieee_inexact 0
		.amdhsa_exception_int_div_zero 0
	.end_amdhsa_kernel
	.text
.Lfunc_end0:
	.size	fft_rtc_back_len1573_factors_13_11_11_wgs_143_tpt_143_dp_ip_CI_sbrr_dirReg, .Lfunc_end0-fft_rtc_back_len1573_factors_13_11_11_wgs_143_tpt_143_dp_ip_CI_sbrr_dirReg
                                        ; -- End function
	.section	.AMDGPU.csdata,"",@progbits
; Kernel info:
; codeLenInByte = 10396
; NumSgprs: 46
; NumVgprs: 216
; ScratchSize: 0
; MemoryBound: 1
; FloatMode: 240
; IeeeMode: 1
; LDSByteSize: 0 bytes/workgroup (compile time only)
; SGPRBlocks: 5
; VGPRBlocks: 26
; NumSGPRsForWavesPerEU: 46
; NumVGPRsForWavesPerEU: 216
; Occupancy: 7
; WaveLimiterHint : 1
; COMPUTE_PGM_RSRC2:SCRATCH_EN: 0
; COMPUTE_PGM_RSRC2:USER_SGPR: 2
; COMPUTE_PGM_RSRC2:TRAP_HANDLER: 0
; COMPUTE_PGM_RSRC2:TGID_X_EN: 1
; COMPUTE_PGM_RSRC2:TGID_Y_EN: 0
; COMPUTE_PGM_RSRC2:TGID_Z_EN: 0
; COMPUTE_PGM_RSRC2:TIDIG_COMP_CNT: 0
	.text
	.p2alignl 7, 3214868480
	.fill 96, 4, 3214868480
	.type	__hip_cuid_527e50445c417ad3,@object ; @__hip_cuid_527e50445c417ad3
	.section	.bss,"aw",@nobits
	.globl	__hip_cuid_527e50445c417ad3
__hip_cuid_527e50445c417ad3:
	.byte	0                               ; 0x0
	.size	__hip_cuid_527e50445c417ad3, 1

	.ident	"AMD clang version 19.0.0git (https://github.com/RadeonOpenCompute/llvm-project roc-6.4.0 25133 c7fe45cf4b819c5991fe208aaa96edf142730f1d)"
	.section	".note.GNU-stack","",@progbits
	.addrsig
	.addrsig_sym __hip_cuid_527e50445c417ad3
	.amdgpu_metadata
---
amdhsa.kernels:
  - .args:
      - .actual_access:  read_only
        .address_space:  global
        .offset:         0
        .size:           8
        .value_kind:     global_buffer
      - .offset:         8
        .size:           8
        .value_kind:     by_value
      - .actual_access:  read_only
        .address_space:  global
        .offset:         16
        .size:           8
        .value_kind:     global_buffer
      - .actual_access:  read_only
        .address_space:  global
        .offset:         24
        .size:           8
        .value_kind:     global_buffer
      - .offset:         32
        .size:           8
        .value_kind:     by_value
      - .actual_access:  read_only
        .address_space:  global
        .offset:         40
        .size:           8
        .value_kind:     global_buffer
      - .actual_access:  read_only
        .address_space:  global
        .offset:         48
        .size:           8
        .value_kind:     global_buffer
      - .offset:         56
        .size:           4
        .value_kind:     by_value
      - .actual_access:  read_only
        .address_space:  global
        .offset:         64
        .size:           8
        .value_kind:     global_buffer
      - .actual_access:  read_only
        .address_space:  global
        .offset:         72
        .size:           8
        .value_kind:     global_buffer
      - .address_space:  global
        .offset:         80
        .size:           8
        .value_kind:     global_buffer
    .group_segment_fixed_size: 0
    .kernarg_segment_align: 8
    .kernarg_segment_size: 88
    .language:       OpenCL C
    .language_version:
      - 2
      - 0
    .max_flat_workgroup_size: 143
    .name:           fft_rtc_back_len1573_factors_13_11_11_wgs_143_tpt_143_dp_ip_CI_sbrr_dirReg
    .private_segment_fixed_size: 0
    .sgpr_count:     46
    .sgpr_spill_count: 0
    .symbol:         fft_rtc_back_len1573_factors_13_11_11_wgs_143_tpt_143_dp_ip_CI_sbrr_dirReg.kd
    .uniform_work_group_size: 1
    .uses_dynamic_stack: false
    .vgpr_count:     216
    .vgpr_spill_count: 0
    .wavefront_size: 32
    .workgroup_processor_mode: 1
amdhsa.target:   amdgcn-amd-amdhsa--gfx1201
amdhsa.version:
  - 1
  - 2
...

	.end_amdgpu_metadata
